;; amdgpu-corpus repo=ROCm/rocFFT kind=compiled arch=gfx1201 opt=O3
	.text
	.amdgcn_target "amdgcn-amd-amdhsa--gfx1201"
	.amdhsa_code_object_version 6
	.protected	fft_rtc_fwd_len1105_factors_17_13_5_wgs_255_tpt_85_halfLds_sp_ip_CI_unitstride_sbrr_dirReg ; -- Begin function fft_rtc_fwd_len1105_factors_17_13_5_wgs_255_tpt_85_halfLds_sp_ip_CI_unitstride_sbrr_dirReg
	.globl	fft_rtc_fwd_len1105_factors_17_13_5_wgs_255_tpt_85_halfLds_sp_ip_CI_unitstride_sbrr_dirReg
	.p2align	8
	.type	fft_rtc_fwd_len1105_factors_17_13_5_wgs_255_tpt_85_halfLds_sp_ip_CI_unitstride_sbrr_dirReg,@function
fft_rtc_fwd_len1105_factors_17_13_5_wgs_255_tpt_85_halfLds_sp_ip_CI_unitstride_sbrr_dirReg: ; @fft_rtc_fwd_len1105_factors_17_13_5_wgs_255_tpt_85_halfLds_sp_ip_CI_unitstride_sbrr_dirReg
; %bb.0:
	s_load_b128 s[4:7], s[0:1], 0x0
	v_mul_u32_u24_e32 v1, 0x304, v0
	s_clause 0x1
	s_load_b64 s[8:9], s[0:1], 0x50
	s_load_b64 s[10:11], s[0:1], 0x18
	v_mov_b32_e32 v6, 0
	v_lshrrev_b32_e32 v1, 16, v1
	s_delay_alu instid0(VALU_DEP_1) | instskip(SKIP_1) | instid1(VALU_DEP_4)
	v_mad_co_u64_u32 v[4:5], null, ttmp9, 3, v[1:2]
	v_mov_b32_e32 v1, 0
	v_dual_mov_b32 v5, v6 :: v_dual_mov_b32 v2, 0
	s_delay_alu instid0(VALU_DEP_1) | instskip(SKIP_2) | instid1(VALU_DEP_1)
	v_dual_mov_b32 v11, v5 :: v_dual_mov_b32 v10, v4
	s_wait_kmcnt 0x0
	v_cmp_lt_u64_e64 s2, s[6:7], 2
	s_and_b32 vcc_lo, exec_lo, s2
	s_cbranch_vccnz .LBB0_8
; %bb.1:
	s_load_b64 s[2:3], s[0:1], 0x10
	v_mov_b32_e32 v1, 0
	v_dual_mov_b32 v2, 0 :: v_dual_mov_b32 v9, v5
	v_mov_b32_e32 v8, v4
	s_add_nc_u64 s[12:13], s[10:11], 8
	s_mov_b64 s[14:15], 1
	s_wait_kmcnt 0x0
	s_add_nc_u64 s[16:17], s[2:3], 8
	s_mov_b32 s3, 0
.LBB0_2:                                ; =>This Inner Loop Header: Depth=1
	s_load_b64 s[18:19], s[16:17], 0x0
                                        ; implicit-def: $vgpr10_vgpr11
	s_mov_b32 s2, exec_lo
	s_wait_kmcnt 0x0
	v_or_b32_e32 v7, s19, v9
	s_delay_alu instid0(VALU_DEP_1)
	v_cmpx_ne_u64_e32 0, v[6:7]
	s_wait_alu 0xfffe
	s_xor_b32 s20, exec_lo, s2
	s_cbranch_execz .LBB0_4
; %bb.3:                                ;   in Loop: Header=BB0_2 Depth=1
	s_cvt_f32_u32 s2, s18
	s_cvt_f32_u32 s21, s19
	s_sub_nc_u64 s[24:25], 0, s[18:19]
	s_wait_alu 0xfffe
	s_delay_alu instid0(SALU_CYCLE_1) | instskip(SKIP_1) | instid1(SALU_CYCLE_2)
	s_fmamk_f32 s2, s21, 0x4f800000, s2
	s_wait_alu 0xfffe
	v_s_rcp_f32 s2, s2
	s_delay_alu instid0(TRANS32_DEP_1) | instskip(SKIP_1) | instid1(SALU_CYCLE_2)
	s_mul_f32 s2, s2, 0x5f7ffffc
	s_wait_alu 0xfffe
	s_mul_f32 s21, s2, 0x2f800000
	s_wait_alu 0xfffe
	s_delay_alu instid0(SALU_CYCLE_2) | instskip(SKIP_1) | instid1(SALU_CYCLE_2)
	s_trunc_f32 s21, s21
	s_wait_alu 0xfffe
	s_fmamk_f32 s2, s21, 0xcf800000, s2
	s_cvt_u32_f32 s23, s21
	s_wait_alu 0xfffe
	s_delay_alu instid0(SALU_CYCLE_1) | instskip(SKIP_1) | instid1(SALU_CYCLE_2)
	s_cvt_u32_f32 s22, s2
	s_wait_alu 0xfffe
	s_mul_u64 s[26:27], s[24:25], s[22:23]
	s_wait_alu 0xfffe
	s_mul_hi_u32 s29, s22, s27
	s_mul_i32 s28, s22, s27
	s_mul_hi_u32 s2, s22, s26
	s_mul_i32 s30, s23, s26
	s_wait_alu 0xfffe
	s_add_nc_u64 s[28:29], s[2:3], s[28:29]
	s_mul_hi_u32 s21, s23, s26
	s_mul_hi_u32 s31, s23, s27
	s_add_co_u32 s2, s28, s30
	s_wait_alu 0xfffe
	s_add_co_ci_u32 s2, s29, s21
	s_mul_i32 s26, s23, s27
	s_add_co_ci_u32 s27, s31, 0
	s_wait_alu 0xfffe
	s_add_nc_u64 s[26:27], s[2:3], s[26:27]
	s_wait_alu 0xfffe
	v_add_co_u32 v3, s2, s22, s26
	s_delay_alu instid0(VALU_DEP_1) | instskip(SKIP_1) | instid1(VALU_DEP_1)
	s_cmp_lg_u32 s2, 0
	s_add_co_ci_u32 s23, s23, s27
	v_readfirstlane_b32 s22, v3
	s_wait_alu 0xfffe
	s_delay_alu instid0(VALU_DEP_1)
	s_mul_u64 s[24:25], s[24:25], s[22:23]
	s_wait_alu 0xfffe
	s_mul_hi_u32 s27, s22, s25
	s_mul_i32 s26, s22, s25
	s_mul_hi_u32 s2, s22, s24
	s_mul_i32 s28, s23, s24
	s_wait_alu 0xfffe
	s_add_nc_u64 s[26:27], s[2:3], s[26:27]
	s_mul_hi_u32 s21, s23, s24
	s_mul_hi_u32 s22, s23, s25
	s_wait_alu 0xfffe
	s_add_co_u32 s2, s26, s28
	s_add_co_ci_u32 s2, s27, s21
	s_mul_i32 s24, s23, s25
	s_add_co_ci_u32 s25, s22, 0
	s_wait_alu 0xfffe
	s_add_nc_u64 s[24:25], s[2:3], s[24:25]
	s_wait_alu 0xfffe
	v_add_co_u32 v3, s2, v3, s24
	s_delay_alu instid0(VALU_DEP_1) | instskip(SKIP_1) | instid1(VALU_DEP_1)
	s_cmp_lg_u32 s2, 0
	s_add_co_ci_u32 s2, s23, s25
	v_mul_hi_u32 v5, v8, v3
	s_wait_alu 0xfffe
	v_mad_co_u64_u32 v[10:11], null, v8, s2, 0
	v_mad_co_u64_u32 v[12:13], null, v9, v3, 0
	;; [unrolled: 1-line block ×3, first 2 shown]
	s_delay_alu instid0(VALU_DEP_3) | instskip(SKIP_1) | instid1(VALU_DEP_4)
	v_add_co_u32 v3, vcc_lo, v5, v10
	s_wait_alu 0xfffd
	v_add_co_ci_u32_e32 v5, vcc_lo, 0, v11, vcc_lo
	s_delay_alu instid0(VALU_DEP_2) | instskip(SKIP_1) | instid1(VALU_DEP_2)
	v_add_co_u32 v3, vcc_lo, v3, v12
	s_wait_alu 0xfffd
	v_add_co_ci_u32_e32 v3, vcc_lo, v5, v13, vcc_lo
	s_wait_alu 0xfffd
	v_add_co_ci_u32_e32 v5, vcc_lo, 0, v15, vcc_lo
	s_delay_alu instid0(VALU_DEP_2) | instskip(SKIP_1) | instid1(VALU_DEP_2)
	v_add_co_u32 v3, vcc_lo, v3, v14
	s_wait_alu 0xfffd
	v_add_co_ci_u32_e32 v5, vcc_lo, 0, v5, vcc_lo
	s_delay_alu instid0(VALU_DEP_2) | instskip(SKIP_1) | instid1(VALU_DEP_3)
	v_mul_lo_u32 v7, s19, v3
	v_mad_co_u64_u32 v[10:11], null, s18, v3, 0
	v_mul_lo_u32 v12, s18, v5
	s_delay_alu instid0(VALU_DEP_2) | instskip(NEXT) | instid1(VALU_DEP_2)
	v_sub_co_u32 v10, vcc_lo, v8, v10
	v_add3_u32 v7, v11, v12, v7
	s_delay_alu instid0(VALU_DEP_1) | instskip(SKIP_1) | instid1(VALU_DEP_1)
	v_sub_nc_u32_e32 v11, v9, v7
	s_wait_alu 0xfffd
	v_subrev_co_ci_u32_e64 v11, s2, s19, v11, vcc_lo
	v_add_co_u32 v12, s2, v3, 2
	s_wait_alu 0xf1ff
	v_add_co_ci_u32_e64 v13, s2, 0, v5, s2
	v_sub_co_u32 v14, s2, v10, s18
	v_sub_co_ci_u32_e32 v7, vcc_lo, v9, v7, vcc_lo
	s_wait_alu 0xf1ff
	v_subrev_co_ci_u32_e64 v11, s2, 0, v11, s2
	s_delay_alu instid0(VALU_DEP_3) | instskip(NEXT) | instid1(VALU_DEP_3)
	v_cmp_le_u32_e32 vcc_lo, s18, v14
	v_cmp_eq_u32_e64 s2, s19, v7
	s_wait_alu 0xfffd
	v_cndmask_b32_e64 v14, 0, -1, vcc_lo
	v_cmp_le_u32_e32 vcc_lo, s19, v11
	s_wait_alu 0xfffd
	v_cndmask_b32_e64 v15, 0, -1, vcc_lo
	v_cmp_le_u32_e32 vcc_lo, s18, v10
	;; [unrolled: 3-line block ×3, first 2 shown]
	s_wait_alu 0xfffd
	v_cndmask_b32_e64 v16, 0, -1, vcc_lo
	v_cmp_eq_u32_e32 vcc_lo, s19, v11
	s_wait_alu 0xf1ff
	s_delay_alu instid0(VALU_DEP_2)
	v_cndmask_b32_e64 v7, v16, v10, s2
	s_wait_alu 0xfffd
	v_cndmask_b32_e32 v11, v15, v14, vcc_lo
	v_add_co_u32 v14, vcc_lo, v3, 1
	s_wait_alu 0xfffd
	v_add_co_ci_u32_e32 v15, vcc_lo, 0, v5, vcc_lo
	s_delay_alu instid0(VALU_DEP_3) | instskip(SKIP_2) | instid1(VALU_DEP_3)
	v_cmp_ne_u32_e32 vcc_lo, 0, v11
	s_wait_alu 0xfffd
	v_cndmask_b32_e32 v12, v14, v12, vcc_lo
	v_cndmask_b32_e32 v10, v15, v13, vcc_lo
	v_cmp_ne_u32_e32 vcc_lo, 0, v7
	s_wait_alu 0xfffd
	s_delay_alu instid0(VALU_DEP_2)
	v_dual_cndmask_b32 v11, v5, v10 :: v_dual_cndmask_b32 v10, v3, v12
.LBB0_4:                                ;   in Loop: Header=BB0_2 Depth=1
	s_wait_alu 0xfffe
	s_and_not1_saveexec_b32 s2, s20
	s_cbranch_execz .LBB0_6
; %bb.5:                                ;   in Loop: Header=BB0_2 Depth=1
	v_cvt_f32_u32_e32 v3, s18
	s_sub_co_i32 s20, 0, s18
	v_mov_b32_e32 v11, v6
	s_delay_alu instid0(VALU_DEP_2) | instskip(NEXT) | instid1(TRANS32_DEP_1)
	v_rcp_iflag_f32_e32 v3, v3
	v_mul_f32_e32 v3, 0x4f7ffffe, v3
	s_delay_alu instid0(VALU_DEP_1) | instskip(SKIP_1) | instid1(VALU_DEP_1)
	v_cvt_u32_f32_e32 v3, v3
	s_wait_alu 0xfffe
	v_mul_lo_u32 v5, s20, v3
	s_delay_alu instid0(VALU_DEP_1) | instskip(NEXT) | instid1(VALU_DEP_1)
	v_mul_hi_u32 v5, v3, v5
	v_add_nc_u32_e32 v3, v3, v5
	s_delay_alu instid0(VALU_DEP_1) | instskip(NEXT) | instid1(VALU_DEP_1)
	v_mul_hi_u32 v3, v8, v3
	v_mul_lo_u32 v5, v3, s18
	v_add_nc_u32_e32 v7, 1, v3
	s_delay_alu instid0(VALU_DEP_2) | instskip(NEXT) | instid1(VALU_DEP_1)
	v_sub_nc_u32_e32 v5, v8, v5
	v_cmp_le_u32_e32 vcc_lo, s18, v5
	v_subrev_nc_u32_e32 v10, s18, v5
	s_wait_alu 0xfffd
	v_cndmask_b32_e32 v3, v3, v7, vcc_lo
	s_delay_alu instid0(VALU_DEP_1) | instskip(NEXT) | instid1(VALU_DEP_3)
	v_add_nc_u32_e32 v7, 1, v3
	v_cndmask_b32_e32 v5, v5, v10, vcc_lo
	s_delay_alu instid0(VALU_DEP_1) | instskip(SKIP_1) | instid1(VALU_DEP_3)
	v_cmp_le_u32_e32 vcc_lo, s18, v5
	s_wait_alu 0xfffd
	v_cndmask_b32_e32 v10, v3, v7, vcc_lo
.LBB0_6:                                ;   in Loop: Header=BB0_2 Depth=1
	s_wait_alu 0xfffe
	s_or_b32 exec_lo, exec_lo, s2
	s_load_b64 s[20:21], s[12:13], 0x0
	v_mul_lo_u32 v3, v11, s18
	v_mul_lo_u32 v5, v10, s19
	v_mad_co_u64_u32 v[12:13], null, v10, s18, 0
	s_add_nc_u64 s[14:15], s[14:15], 1
	s_add_nc_u64 s[12:13], s[12:13], 8
	s_wait_alu 0xfffe
	v_cmp_ge_u64_e64 s2, s[14:15], s[6:7]
	s_add_nc_u64 s[16:17], s[16:17], 8
	s_delay_alu instid0(VALU_DEP_2) | instskip(NEXT) | instid1(VALU_DEP_3)
	v_add3_u32 v3, v13, v5, v3
	v_sub_co_u32 v5, vcc_lo, v8, v12
	s_wait_alu 0xfffd
	s_delay_alu instid0(VALU_DEP_2) | instskip(SKIP_3) | instid1(VALU_DEP_2)
	v_sub_co_ci_u32_e32 v3, vcc_lo, v9, v3, vcc_lo
	s_and_b32 vcc_lo, exec_lo, s2
	s_wait_kmcnt 0x0
	v_mul_lo_u32 v7, s21, v5
	v_mul_lo_u32 v3, s20, v3
	v_mad_co_u64_u32 v[1:2], null, s20, v5, v[1:2]
	s_delay_alu instid0(VALU_DEP_1)
	v_add3_u32 v2, v7, v2, v3
	s_wait_alu 0xfffe
	s_cbranch_vccnz .LBB0_8
; %bb.7:                                ;   in Loop: Header=BB0_2 Depth=1
	v_dual_mov_b32 v8, v10 :: v_dual_mov_b32 v9, v11
	s_branch .LBB0_2
.LBB0_8:
	s_lshl_b64 s[2:3], s[6:7], 3
	v_mul_hi_u32 v3, 0x3030304, v0
	s_wait_alu 0xfffe
	s_add_nc_u64 s[2:3], s[10:11], s[2:3]
	v_dual_mov_b32 v9, 0 :: v_dual_mov_b32 v8, 0
	s_load_b64 s[2:3], s[2:3], 0x0
	s_load_b64 s[0:1], s[0:1], 0x20
                                        ; implicit-def: $vgpr33
                                        ; implicit-def: $vgpr35
                                        ; implicit-def: $vgpr37
                                        ; implicit-def: $vgpr39
                                        ; implicit-def: $vgpr41
                                        ; implicit-def: $vgpr31
                                        ; implicit-def: $vgpr19
                                        ; implicit-def: $vgpr21
                                        ; implicit-def: $vgpr13
                                        ; implicit-def: $vgpr15
                                        ; implicit-def: $vgpr17
                                        ; implicit-def: $vgpr23
                                        ; implicit-def: $vgpr25
                                        ; implicit-def: $vgpr27
                                        ; implicit-def: $vgpr29
	s_delay_alu instid0(VALU_DEP_2) | instskip(NEXT) | instid1(VALU_DEP_1)
	v_mul_u32_u24_e32 v3, 0x55, v3
	v_sub_nc_u32_e32 v0, v0, v3
	s_wait_kmcnt 0x0
	v_mul_lo_u32 v5, s2, v11
	v_mul_lo_u32 v6, s3, v10
	v_mad_co_u64_u32 v[1:2], null, s2, v10, v[1:2]
	v_cmp_gt_u64_e32 vcc_lo, s[0:1], v[10:11]
	v_cmp_gt_u32_e64 s0, 0x41, v0
                                        ; implicit-def: $vgpr11
	s_delay_alu instid0(VALU_DEP_1) | instskip(NEXT) | instid1(VALU_DEP_3)
	s_and_b32 s1, vcc_lo, s0
	v_add3_u32 v2, v6, v2, v5
	s_delay_alu instid0(VALU_DEP_1)
	v_lshlrev_b64_e32 v[2:3], 3, v[1:2]
	s_wait_alu 0xfffe
	s_and_saveexec_b32 s2, s1
; %bb.9:
	v_mov_b32_e32 v1, 0
	s_delay_alu instid0(VALU_DEP_1) | instskip(NEXT) | instid1(VALU_DEP_3)
	v_lshlrev_b64_e32 v[5:6], 3, v[0:1]
	v_add_co_u32 v1, s1, s8, v2
	s_wait_alu 0xf1ff
	v_add_co_ci_u32_e64 v7, s1, s9, v3, s1
	s_delay_alu instid0(VALU_DEP_2) | instskip(SKIP_1) | instid1(VALU_DEP_2)
	v_add_co_u32 v5, s1, v1, v5
	s_wait_alu 0xf1ff
	v_add_co_ci_u32_e64 v6, s1, v7, v6, s1
	s_clause 0x10
	global_load_b64 v[8:9], v[5:6], off
	global_load_b64 v[32:33], v[5:6], off offset:520
	global_load_b64 v[34:35], v[5:6], off offset:1040
	;; [unrolled: 1-line block ×16, first 2 shown]
; %bb.10:
	s_wait_alu 0xfffe
	s_or_b32 exec_lo, exec_lo, s2
	s_wait_loadcnt 0x0
	v_dual_add_f32 v1, v32, v10 :: v_dual_sub_f32 v42, v33, v11
	v_add_f32_e32 v6, v34, v12
	v_mul_hi_u32 v5, 0xaaaaaaab, v4
	v_add_f32_e32 v7, v36, v14
	s_delay_alu instid0(VALU_DEP_4) | instskip(SKIP_4) | instid1(VALU_DEP_4)
	v_mul_f32_e32 v65, 0x3dbcf732, v1
	v_mul_f32_e32 v56, 0x3ee437d1, v1
	v_sub_f32_e32 v43, v35, v13
	v_dual_mul_f32 v57, 0xbf1a4643, v6 :: v_dual_sub_f32 v46, v37, v15
	v_mul_f32_e32 v59, 0xbf7ba420, v7
	v_fmamk_f32 v44, v42, 0xbf65296c, v56
	v_fmamk_f32 v45, v42, 0xbf7ee86f, v65
	s_delay_alu instid0(VALU_DEP_4) | instskip(SKIP_1) | instid1(VALU_DEP_4)
	v_fmamk_f32 v47, v43, 0xbf4c4adb, v57
	v_lshrrev_b32_e32 v5, 1, v5
	v_add_f32_e32 v44, v8, v44
	s_delay_alu instid0(VALU_DEP_4) | instskip(NEXT) | instid1(VALU_DEP_3)
	v_dual_mul_f32 v68, 0xbf7ba420, v6 :: v_dual_add_f32 v45, v8, v45
	v_lshl_add_u32 v5, v5, 1, v5
	s_delay_alu instid0(VALU_DEP_2) | instskip(SKIP_1) | instid1(VALU_DEP_3)
	v_dual_add_f32 v47, v44, v47 :: v_dual_fmamk_f32 v48, v43, 0xbe3c28d5, v68
	v_dual_add_f32 v44, v38, v16 :: v_dual_mul_f32 v69, 0xbe8c1d8e, v7
	v_sub_nc_u32_e32 v4, v4, v5
	s_delay_alu instid0(VALU_DEP_2) | instskip(NEXT) | instid1(VALU_DEP_3)
	v_mul_f32_e32 v60, 0xbe8c1d8e, v44
	v_dual_add_f32 v49, v45, v48 :: v_dual_fmamk_f32 v50, v46, 0x3f763a35, v69
	v_dual_sub_f32 v48, v39, v17 :: v_dual_fmamk_f32 v45, v46, 0x3e3c28d5, v59
	v_mul_f32_e32 v63, 0x3f6eb680, v44
	v_mul_u32_u24_e32 v4, 0x451, v4
	s_delay_alu instid0(VALU_DEP_4) | instskip(NEXT) | instid1(VALU_DEP_4)
	v_add_f32_e32 v49, v49, v50
	v_dual_sub_f32 v50, v41, v23 :: v_dual_add_f32 v47, v47, v45
	s_delay_alu instid0(VALU_DEP_4) | instskip(NEXT) | instid1(VALU_DEP_4)
	v_fmamk_f32 v52, v48, 0x3eb8f4ab, v63
	v_dual_add_f32 v45, v40, v22 :: v_dual_lshlrev_b32 v4, 2, v4
	s_delay_alu instid0(VALU_DEP_1) | instskip(SKIP_1) | instid1(VALU_DEP_2)
	v_dual_mul_f32 v66, 0x3ee437d1, v45 :: v_dual_add_f32 v53, v49, v52
	v_sub_f32_e32 v52, v31, v25
	v_fmamk_f32 v54, v50, 0xbf65296c, v66
	s_delay_alu instid0(VALU_DEP_1) | instskip(NEXT) | instid1(VALU_DEP_1)
	v_dual_fmamk_f32 v51, v48, 0x3f763a35, v60 :: v_dual_add_f32 v54, v53, v54
	v_add_f32_e32 v51, v47, v51
	v_add_f32_e32 v47, v30, v24
	v_sub_f32_e32 v53, v19, v27
	s_delay_alu instid0(VALU_DEP_2) | instskip(SKIP_1) | instid1(VALU_DEP_2)
	v_mul_f32_e32 v67, 0xbf59a7d5, v47
	v_mul_f32_e32 v62, 0x3f6eb680, v47
	v_fmamk_f32 v58, v52, 0xbf06c442, v67
	s_delay_alu instid0(VALU_DEP_1) | instskip(SKIP_1) | instid1(VALU_DEP_1)
	v_dual_add_f32 v54, v54, v58 :: v_dual_fmamk_f32 v55, v52, 0xbeb8f4ab, v62
	v_mul_f32_e32 v61, 0x3f3d2fb0, v45
	v_fmamk_f32 v49, v50, 0x3f2c7751, v61
	s_delay_alu instid0(VALU_DEP_1) | instskip(SKIP_1) | instid1(VALU_DEP_1)
	v_add_f32_e32 v51, v51, v49
	v_add_f32_e32 v49, v18, v26
	v_mul_f32_e32 v71, 0xbf1a4643, v49
	s_delay_alu instid0(VALU_DEP_1) | instskip(NEXT) | instid1(VALU_DEP_4)
	v_fmamk_f32 v74, v53, 0x3f4c4adb, v71
	v_dual_add_f32 v72, v51, v55 :: v_dual_sub_f32 v55, v21, v29
	v_add_f32_e32 v51, v20, v28
	s_delay_alu instid0(VALU_DEP_1) | instskip(SKIP_1) | instid1(VALU_DEP_1)
	v_mul_f32_e32 v58, 0xbf59a7d5, v51
	v_mul_f32_e32 v64, 0x3dbcf732, v49
	v_fmamk_f32 v73, v53, 0xbf7ee86f, v64
	s_delay_alu instid0(VALU_DEP_1) | instskip(NEXT) | instid1(VALU_DEP_4)
	v_dual_add_f32 v5, v72, v73 :: v_dual_add_f32 v72, v54, v74
	v_fmamk_f32 v54, v55, 0xbf06c442, v58
	v_mul_f32_e32 v70, 0x3f3d2fb0, v51
	s_delay_alu instid0(VALU_DEP_1) | instskip(NEXT) | instid1(VALU_DEP_1)
	v_dual_add_f32 v54, v5, v54 :: v_dual_fmamk_f32 v73, v55, 0x3f2c7751, v70
	v_add_f32_e32 v5, v72, v73
	s_and_saveexec_b32 s1, s0
	s_cbranch_execz .LBB0_12
; %bb.11:
	v_dual_mul_f32 v75, 0xbf4c4adb, v43 :: v_dual_mul_f32 v80, 0xbf4c4adb, v50
	v_mul_f32_e32 v72, 0xbe3c28d5, v42
	v_mul_f32_e32 v82, 0x3f65296c, v52
	;; [unrolled: 1-line block ×4, first 2 shown]
	v_fmamk_f32 v87, v45, 0xbf1a4643, v80
	v_mul_f32_e32 v78, 0xbf06c442, v46
	v_fmamk_f32 v77, v1, 0xbf7ba420, v72
	v_fma_f32 v80, 0xbf1a4643, v45, -v80
	v_dual_sub_f32 v68, v68, v91 :: v_dual_mul_f32 v91, 0x3eb8f4ab, v48
	s_delay_alu instid0(VALU_DEP_4) | instskip(NEXT) | instid1(VALU_DEP_4)
	v_fmamk_f32 v85, v7, 0xbf59a7d5, v78
	v_dual_mul_f32 v76, 0x3eb8f4ab, v43 :: v_dual_add_f32 v77, v8, v77
	v_fma_f32 v72, 0xbf7ba420, v1, -v72
	v_mul_f32_e32 v73, 0xbf65296c, v42
	v_sub_f32_e32 v63, v63, v91
	s_delay_alu instid0(VALU_DEP_4) | instskip(SKIP_3) | instid1(VALU_DEP_4)
	v_fmamk_f32 v81, v6, 0x3f6eb680, v76
	v_mul_f32_e32 v74, 0xbf7ee86f, v42
	v_dual_add_f32 v72, v8, v72 :: v_dual_sub_f32 v57, v57, v75
	v_sub_f32_e32 v56, v56, v73
	v_add_f32_e32 v77, v77, v81
	v_mul_f32_e32 v81, 0xbf06c442, v42
	v_dual_mul_f32 v90, 0x3f65296c, v55 :: v_dual_sub_f32 v65, v65, v74
	s_delay_alu instid0(VALU_DEP_3) | instskip(SKIP_2) | instid1(VALU_DEP_4)
	v_dual_add_f32 v56, v8, v56 :: v_dual_add_f32 v77, v77, v85
	v_fma_f32 v76, 0x3f6eb680, v6, -v76
	v_mul_f32_e32 v85, 0x3f65296c, v43
	v_add_f32_e32 v65, v8, v65
	s_delay_alu instid0(VALU_DEP_4) | instskip(NEXT) | instid1(VALU_DEP_4)
	v_dual_mul_f32 v91, 0x3f2c7751, v55 :: v_dual_add_f32 v56, v56, v57
	v_add_f32_e32 v72, v72, v76
	v_mul_f32_e32 v79, 0x3f2c7751, v48
	s_delay_alu instid0(VALU_DEP_4)
	v_add_f32_e32 v65, v65, v68
	v_mul_f32_e32 v75, 0xbf4c4adb, v55
	v_mul_f32_e32 v73, 0xbf7ee86f, v53
	;; [unrolled: 1-line block ×3, first 2 shown]
	v_fmamk_f32 v86, v44, 0x3f3d2fb0, v79
	v_mul_f32_e32 v84, 0x3f7ee86f, v55
	v_fmamk_f32 v57, v51, 0xbf1a4643, v75
	s_delay_alu instid0(VALU_DEP_3) | instskip(NEXT) | instid1(VALU_DEP_1)
	v_dual_add_f32 v77, v77, v86 :: v_dual_fmamk_f32 v86, v47, 0x3ee437d1, v82
	v_add_f32_e32 v77, v77, v87
	v_fma_f32 v78, 0xbf59a7d5, v7, -v78
	v_fmamk_f32 v87, v1, 0xbf59a7d5, v81
	s_delay_alu instid0(VALU_DEP_2) | instskip(SKIP_1) | instid1(VALU_DEP_1)
	v_dual_mul_f32 v83, 0xbf763a35, v53 :: v_dual_add_f32 v72, v72, v78
	v_fma_f32 v79, 0x3f3d2fb0, v44, -v79
	v_dual_add_f32 v72, v72, v79 :: v_dual_fmamk_f32 v79, v6, 0x3ee437d1, v85
	s_delay_alu instid0(VALU_DEP_4) | instskip(SKIP_1) | instid1(VALU_DEP_3)
	v_dual_add_f32 v77, v77, v86 :: v_dual_add_f32 v86, v8, v87
	v_mul_f32_e32 v76, 0xbf7ee86f, v46
	v_add_f32_e32 v72, v72, v80
	v_fma_f32 v85, 0x3ee437d1, v6, -v85
	s_delay_alu instid0(VALU_DEP_3)
	v_dual_add_f32 v79, v86, v79 :: v_dual_fmamk_f32 v80, v7, 0x3dbcf732, v76
	v_fmamk_f32 v78, v49, 0xbe8c1d8e, v83
	v_fma_f32 v83, 0xbe8c1d8e, v49, -v83
	v_fma_f32 v76, 0x3dbcf732, v7, -v76
	v_mul_f32_e32 v86, 0xbe3c28d5, v52
	v_add_f32_e32 v79, v79, v80
	v_add_f32_e32 v77, v77, v78
	v_fma_f32 v78, 0x3ee437d1, v47, -v82
	s_delay_alu instid0(VALU_DEP_1) | instskip(NEXT) | instid1(VALU_DEP_1)
	v_add_f32_e32 v72, v72, v78
	v_add_f32_e32 v72, v72, v83
	v_fma_f32 v78, 0xbf59a7d5, v1, -v81
	s_delay_alu instid0(VALU_DEP_1) | instskip(SKIP_2) | instid1(VALU_DEP_3)
	v_dual_add_f32 v78, v8, v78 :: v_dual_fmamk_f32 v87, v51, 0x3dbcf732, v84
	v_fma_f32 v84, 0x3dbcf732, v51, -v84
	v_mul_f32_e32 v83, 0x3f2c7751, v53
	v_add_f32_e32 v78, v78, v85
	s_delay_alu instid0(VALU_DEP_4) | instskip(NEXT) | instid1(VALU_DEP_4)
	v_dual_mul_f32 v82, 0x3f4c4adb, v48 :: v_dual_add_f32 v77, v77, v87
	v_add_f32_e32 v72, v72, v84
	v_mul_f32_e32 v84, 0xbf763a35, v55
	s_delay_alu instid0(VALU_DEP_4) | instskip(NEXT) | instid1(VALU_DEP_4)
	v_dual_mul_f32 v81, 0xbeb8f4ab, v50 :: v_dual_add_f32 v76, v78, v76
	v_fma_f32 v78, 0xbf1a4643, v44, -v82
	s_delay_alu instid0(VALU_DEP_3) | instskip(SKIP_3) | instid1(VALU_DEP_3)
	v_fmamk_f32 v87, v51, 0xbe8c1d8e, v84
	v_fmamk_f32 v80, v44, 0xbf1a4643, v82
	v_mul_f32_e32 v82, 0xbf4c4adb, v42
	v_fma_f32 v84, 0xbe8c1d8e, v51, -v84
	v_dual_add_f32 v79, v79, v80 :: v_dual_fmamk_f32 v80, v45, 0x3f6eb680, v81
	s_delay_alu instid0(VALU_DEP_1) | instskip(SKIP_1) | instid1(VALU_DEP_1)
	v_add_f32_e32 v79, v79, v80
	v_fmamk_f32 v80, v47, 0xbf7ba420, v86
	v_dual_add_f32 v79, v79, v80 :: v_dual_fmamk_f32 v80, v49, 0x3f3d2fb0, v83
	v_add_f32_e32 v76, v76, v78
	v_fma_f32 v78, 0x3f6eb680, v45, -v81
	s_delay_alu instid0(VALU_DEP_3) | instskip(NEXT) | instid1(VALU_DEP_2)
	v_dual_add_f32 v79, v79, v80 :: v_dual_fmamk_f32 v80, v1, 0xbf1a4643, v82
	v_dual_mul_f32 v81, 0x3f763a35, v43 :: v_dual_add_f32 v76, v76, v78
	v_fma_f32 v78, 0xbf7ba420, v47, -v86
	v_mul_f32_e32 v86, 0xbeb8f4ab, v46
	s_delay_alu instid0(VALU_DEP_3) | instskip(SKIP_1) | instid1(VALU_DEP_4)
	v_dual_add_f32 v80, v8, v80 :: v_dual_fmamk_f32 v85, v6, 0xbe8c1d8e, v81
	v_fma_f32 v81, 0xbe8c1d8e, v6, -v81
	v_add_f32_e32 v76, v76, v78
	v_fma_f32 v78, 0x3f3d2fb0, v49, -v83
	s_delay_alu instid0(VALU_DEP_4) | instskip(SKIP_1) | instid1(VALU_DEP_3)
	v_dual_fmamk_f32 v83, v7, 0x3f6eb680, v86 :: v_dual_add_f32 v80, v80, v85
	v_mul_f32_e32 v85, 0xbf06c442, v48
	v_dual_add_f32 v79, v79, v87 :: v_dual_add_f32 v76, v76, v78
	v_fma_f32 v78, 0xbf1a4643, v1, -v82
	s_delay_alu instid0(VALU_DEP_4) | instskip(SKIP_1) | instid1(VALU_DEP_3)
	v_dual_mul_f32 v87, 0xbf2c7751, v52 :: v_dual_add_f32 v80, v80, v83
	v_mul_f32_e32 v83, 0x3f7ee86f, v50
	v_add_f32_e32 v78, v8, v78
	s_delay_alu instid0(VALU_DEP_1) | instskip(SKIP_2) | instid1(VALU_DEP_2)
	v_add_f32_e32 v78, v78, v81
	v_fma_f32 v81, 0x3f6eb680, v7, -v86
	v_mul_f32_e32 v86, 0xbe3c28d5, v53
	v_add_f32_e32 v78, v78, v81
	v_fma_f32 v81, 0xbf59a7d5, v44, -v85
	s_delay_alu instid0(VALU_DEP_3) | instskip(SKIP_1) | instid1(VALU_DEP_3)
	v_fmamk_f32 v88, v49, 0xbf7ba420, v86
	v_fma_f32 v86, 0xbf7ba420, v49, -v86
	v_add_f32_e32 v78, v78, v81
	v_fma_f32 v81, 0x3dbcf732, v45, -v83
	s_delay_alu instid0(VALU_DEP_1) | instskip(SKIP_1) | instid1(VALU_DEP_1)
	v_add_f32_e32 v78, v78, v81
	v_fma_f32 v81, 0x3f3d2fb0, v47, -v87
	v_add_f32_e32 v78, v78, v81
	s_delay_alu instid0(VALU_DEP_1) | instskip(SKIP_1) | instid1(VALU_DEP_1)
	v_add_f32_e32 v78, v78, v86
	v_fma_f32 v86, 0x3ee437d1, v51, -v90
	v_add_f32_e32 v78, v78, v86
	v_mul_f32_e32 v86, 0x3f763a35, v46
	v_fmamk_f32 v82, v44, 0xbf59a7d5, v85
	v_dual_mul_f32 v85, 0x3f06c442, v43 :: v_dual_add_f32 v76, v76, v84
	v_mul_f32_e32 v84, 0xbf763a35, v42
	s_delay_alu instid0(VALU_DEP_4) | instskip(NEXT) | instid1(VALU_DEP_4)
	v_sub_f32_e32 v69, v69, v86
	v_add_f32_e32 v80, v80, v82
	v_fmamk_f32 v82, v45, 0x3dbcf732, v83
	v_fmamk_f32 v83, v6, 0xbf59a7d5, v85
	v_fma_f32 v85, 0xbf59a7d5, v6, -v85
	v_dual_add_f32 v65, v65, v69 :: v_dual_mul_f32 v86, 0xbf06c442, v52
	s_delay_alu instid0(VALU_DEP_4) | instskip(SKIP_2) | instid1(VALU_DEP_4)
	v_add_f32_e32 v80, v80, v82
	v_fmamk_f32 v82, v47, 0x3f3d2fb0, v87
	v_mul_f32_e32 v87, 0xbf65296c, v48
	v_add_f32_e32 v63, v65, v63
	s_delay_alu instid0(VALU_DEP_3) | instskip(SKIP_2) | instid1(VALU_DEP_1)
	v_dual_mul_f32 v69, 0xbf06c442, v55 :: v_dual_add_f32 v80, v80, v82
	v_fmamk_f32 v82, v1, 0xbe8c1d8e, v84
	v_fma_f32 v84, 0xbe8c1d8e, v1, -v84
	v_add_f32_e32 v84, v8, v84
	s_delay_alu instid0(VALU_DEP_1) | instskip(SKIP_3) | instid1(VALU_DEP_1)
	v_dual_add_f32 v84, v84, v85 :: v_dual_mul_f32 v85, 0x3f763a35, v48
	v_add_f32_e32 v80, v80, v88
	v_fmamk_f32 v88, v51, 0x3ee437d1, v90
	v_mul_f32_e32 v90, 0x3e3c28d5, v46
	v_sub_f32_e32 v59, v59, v90
	v_add_f32_e32 v82, v8, v82
	s_delay_alu instid0(VALU_DEP_2) | instskip(NEXT) | instid1(VALU_DEP_2)
	v_add_f32_e32 v56, v56, v59
	v_dual_add_f32 v82, v82, v83 :: v_dual_fmamk_f32 v83, v7, 0x3f3d2fb0, v89
	v_fma_f32 v89, 0x3f3d2fb0, v7, -v89
	v_sub_f32_e32 v59, v60, v85
	s_delay_alu instid0(VALU_DEP_3) | instskip(NEXT) | instid1(VALU_DEP_3)
	v_add_f32_e32 v81, v82, v83
	v_dual_mul_f32 v83, 0xbe3c28d5, v50 :: v_dual_add_f32 v84, v84, v89
	v_mul_f32_e32 v89, 0xbf65296c, v50
	v_fmamk_f32 v82, v44, 0x3ee437d1, v87
	v_add_f32_e32 v80, v80, v88
	v_fma_f32 v87, 0x3ee437d1, v44, -v87
	s_delay_alu instid0(VALU_DEP_4) | instskip(NEXT) | instid1(VALU_DEP_4)
	v_dual_add_f32 v56, v56, v59 :: v_dual_sub_f32 v65, v66, v89
	v_add_f32_e32 v81, v81, v82
	v_fmamk_f32 v82, v45, 0xbf7ba420, v83
	v_mul_f32_e32 v88, 0x3f7ee86f, v52
	s_delay_alu instid0(VALU_DEP_4) | instskip(SKIP_1) | instid1(VALU_DEP_3)
	v_dual_add_f32 v84, v84, v87 :: v_dual_add_f32 v63, v63, v65
	v_mul_f32_e32 v87, 0x3f4c4adb, v53
	v_dual_add_f32 v81, v81, v82 :: v_dual_fmamk_f32 v82, v47, 0x3dbcf732, v88
	v_fma_f32 v83, 0xbf7ba420, v45, -v83
	v_sub_f32_e32 v65, v67, v86
	v_dual_mul_f32 v67, 0xbe3c28d5, v48 :: v_dual_sub_f32 v58, v58, v69
	s_delay_alu instid0(VALU_DEP_4) | instskip(NEXT) | instid1(VALU_DEP_4)
	v_dual_add_f32 v81, v81, v82 :: v_dual_mul_f32 v82, 0xbeb8f4ab, v53
	v_add_f32_e32 v83, v84, v83
	v_fma_f32 v84, 0x3dbcf732, v47, -v88
	v_add_f32_e32 v63, v63, v65
	s_delay_alu instid0(VALU_DEP_4) | instskip(SKIP_1) | instid1(VALU_DEP_4)
	v_dual_sub_f32 v65, v71, v87 :: v_dual_fmamk_f32 v74, v49, 0x3f6eb680, v82
	v_fma_f32 v66, 0x3f6eb680, v49, -v82
	v_add_f32_e32 v60, v83, v84
	v_mul_f32_e32 v48, 0xbf7ee86f, v48
	s_delay_alu instid0(VALU_DEP_4) | instskip(SKIP_1) | instid1(VALU_DEP_4)
	v_add_f32_e32 v74, v81, v74
	v_mul_f32_e32 v81, 0x3f2c7751, v50
	v_add_f32_e32 v60, v60, v66
	v_mul_f32_e32 v66, 0xbf4c4adb, v46
	s_delay_alu instid0(VALU_DEP_3) | instskip(SKIP_1) | instid1(VALU_DEP_2)
	v_dual_mul_f32 v46, 0xbf65296c, v46 :: v_dual_sub_f32 v59, v61, v81
	v_fma_f32 v61, 0xbf1a4643, v51, -v75
	v_dual_add_f32 v56, v56, v59 :: v_dual_sub_f32 v59, v62, v68
	v_mul_f32_e32 v62, 0xbf2c7751, v42
	s_delay_alu instid0(VALU_DEP_3) | instskip(SKIP_1) | instid1(VALU_DEP_4)
	v_add_f32_e32 v60, v60, v61
	v_dual_add_f32 v61, v63, v65 :: v_dual_mul_f32 v42, 0xbeb8f4ab, v42
	v_add_f32_e32 v56, v56, v59
	v_sub_f32_e32 v59, v64, v73
	v_fmamk_f32 v63, v1, 0x3f3d2fb0, v62
	v_mul_f32_e32 v64, 0xbf7ee86f, v43
	v_fma_f32 v62, 0x3f3d2fb0, v1, -v62
	v_mul_f32_e32 v43, 0xbf2c7751, v43
	v_add_f32_e32 v56, v56, v59
	v_add_f32_e32 v59, v8, v63
	s_delay_alu instid0(VALU_DEP_4) | instskip(SKIP_1) | instid1(VALU_DEP_4)
	v_dual_fmamk_f32 v63, v6, 0x3dbcf732, v64 :: v_dual_add_f32 v62, v8, v62
	v_fma_f32 v64, 0x3dbcf732, v6, -v64
	v_dual_add_f32 v56, v56, v58 :: v_dual_sub_f32 v65, v70, v91
	s_delay_alu instid0(VALU_DEP_3) | instskip(NEXT) | instid1(VALU_DEP_3)
	v_add_f32_e32 v59, v59, v63
	v_dual_fmamk_f32 v63, v7, 0xbf1a4643, v66 :: v_dual_add_f32 v62, v62, v64
	v_fma_f32 v64, 0xbf1a4643, v7, -v66
	v_fma_f32 v66, 0xbf7ba420, v44, -v67
	s_delay_alu instid0(VALU_DEP_3) | instskip(SKIP_1) | instid1(VALU_DEP_4)
	v_dual_add_f32 v57, v74, v57 :: v_dual_add_f32 v58, v59, v63
	v_fmamk_f32 v59, v44, 0xbf7ba420, v67
	v_dual_mul_f32 v63, 0x3f06c442, v50 :: v_dual_add_f32 v62, v62, v64
	v_add_f32_e32 v64, v8, v32
	s_delay_alu instid0(VALU_DEP_3) | instskip(NEXT) | instid1(VALU_DEP_3)
	v_dual_mul_f32 v67, 0x3f763a35, v52 :: v_dual_add_f32 v58, v58, v59
	v_dual_fmamk_f32 v59, v45, 0xbf59a7d5, v63 :: v_dual_add_f32 v62, v62, v66
	s_delay_alu instid0(VALU_DEP_3) | instskip(SKIP_2) | instid1(VALU_DEP_4)
	v_add_f32_e32 v64, v64, v34
	v_fma_f32 v63, 0xbf59a7d5, v45, -v63
	v_mul_f32_e32 v66, 0x3f65296c, v53
	v_dual_add_f32 v58, v58, v59 :: v_dual_fmamk_f32 v59, v47, 0xbe8c1d8e, v67
	s_delay_alu instid0(VALU_DEP_4) | instskip(NEXT) | instid1(VALU_DEP_4)
	v_add_f32_e32 v64, v64, v36
	v_add_f32_e32 v62, v62, v63
	v_fma_f32 v63, 0xbe8c1d8e, v47, -v67
	v_mul_f32_e32 v67, 0x3eb8f4ab, v55
	s_delay_alu instid0(VALU_DEP_4) | instskip(NEXT) | instid1(VALU_DEP_3)
	v_dual_add_f32 v58, v58, v59 :: v_dual_add_f32 v59, v64, v38
	v_add_f32_e32 v62, v62, v63
	v_fma_f32 v63, 0x3ee437d1, v49, -v66
	s_delay_alu instid0(VALU_DEP_1) | instskip(SKIP_1) | instid1(VALU_DEP_2)
	v_dual_add_f32 v59, v59, v40 :: v_dual_add_f32 v62, v62, v63
	v_fma_f32 v63, 0x3f6eb680, v1, -v42
	v_add_f32_e32 v59, v59, v30
	s_delay_alu instid0(VALU_DEP_1) | instskip(NEXT) | instid1(VALU_DEP_3)
	v_dual_fmamk_f32 v1, v1, 0x3f6eb680, v42 :: v_dual_add_f32 v42, v59, v18
	v_add_f32_e32 v59, v8, v63
	s_delay_alu instid0(VALU_DEP_2) | instskip(SKIP_4) | instid1(VALU_DEP_3)
	v_add_f32_e32 v1, v8, v1
	v_fma_f32 v63, 0x3f3d2fb0, v6, -v43
	v_fmamk_f32 v6, v6, 0x3f3d2fb0, v43
	v_add_f32_e32 v8, v42, v20
	v_fma_f32 v43, 0x3ee437d1, v7, -v46
	v_dual_add_f32 v42, v59, v63 :: v_dual_add_f32 v1, v1, v6
	s_delay_alu instid0(VALU_DEP_3) | instskip(NEXT) | instid1(VALU_DEP_2)
	v_add_f32_e32 v8, v8, v28
	v_dual_fmamk_f32 v6, v7, 0x3ee437d1, v46 :: v_dual_add_f32 v7, v42, v43
	v_fma_f32 v42, 0x3dbcf732, v44, -v48
	s_delay_alu instid0(VALU_DEP_3) | instskip(NEXT) | instid1(VALU_DEP_3)
	v_dual_add_f32 v8, v26, v8 :: v_dual_mul_f32 v43, 0xbf763a35, v50
	v_dual_add_f32 v1, v1, v6 :: v_dual_fmamk_f32 v6, v44, 0x3dbcf732, v48
	s_delay_alu instid0(VALU_DEP_2) | instskip(NEXT) | instid1(VALU_DEP_3)
	v_dual_add_f32 v7, v7, v42 :: v_dual_add_f32 v8, v24, v8
	v_fma_f32 v42, 0xbe8c1d8e, v45, -v43
	s_delay_alu instid0(VALU_DEP_3) | instskip(SKIP_1) | instid1(VALU_DEP_3)
	v_dual_mul_f32 v44, 0xbf4c4adb, v52 :: v_dual_add_f32 v1, v1, v6
	v_fmamk_f32 v6, v45, 0xbe8c1d8e, v43
	v_dual_add_f32 v8, v22, v8 :: v_dual_add_f32 v7, v7, v42
	s_delay_alu instid0(VALU_DEP_3) | instskip(SKIP_1) | instid1(VALU_DEP_3)
	v_fma_f32 v42, 0xbf1a4643, v47, -v44
	v_mul_f32_e32 v43, 0xbf06c442, v53
	v_dual_add_f32 v1, v1, v6 :: v_dual_add_f32 v6, v16, v8
	v_fmamk_f32 v8, v47, 0xbf1a4643, v44
	s_delay_alu instid0(VALU_DEP_4) | instskip(NEXT) | instid1(VALU_DEP_4)
	v_add_f32_e32 v7, v7, v42
	v_fma_f32 v42, 0xbf59a7d5, v49, -v43
	v_mul_f32_e32 v44, 0xbe3c28d5, v55
	s_delay_alu instid0(VALU_DEP_4) | instskip(NEXT) | instid1(VALU_DEP_3)
	v_dual_add_f32 v6, v14, v6 :: v_dual_add_f32 v1, v1, v8
	v_dual_fmamk_f32 v8, v49, 0xbf59a7d5, v43 :: v_dual_add_f32 v7, v7, v42
	s_delay_alu instid0(VALU_DEP_3) | instskip(SKIP_1) | instid1(VALU_DEP_4)
	v_fma_f32 v42, 0xbf7ba420, v51, -v44
	v_fmamk_f32 v64, v49, 0x3ee437d1, v66
	v_add_f32_e32 v6, v12, v6
	v_mul_u32_u24_e32 v43, 0x44, v0
	v_add_f32_e32 v1, v1, v8
	v_add_f32_e32 v7, v7, v42
	v_fmamk_f32 v8, v51, 0xbf7ba420, v44
	v_fma_f32 v66, 0x3f6eb680, v51, -v67
	v_add_f32_e32 v58, v58, v64
	v_add_f32_e32 v6, v10, v6
	v_add3_u32 v42, 0, v43, v4
	v_dual_add_f32 v1, v1, v8 :: v_dual_fmamk_f32 v64, v51, 0x3f6eb680, v67
	v_dual_add_f32 v43, v62, v66 :: v_dual_add_f32 v44, v61, v65
	s_delay_alu instid0(VALU_DEP_2)
	v_add_f32_e32 v45, v58, v64
	ds_store_2addr_b32 v42, v6, v7 offset1:1
	ds_store_2addr_b32 v42, v43, v56 offset0:2 offset1:3
	ds_store_2addr_b32 v42, v44, v60 offset0:4 offset1:5
	;; [unrolled: 1-line block ×7, first 2 shown]
	ds_store_b32 v42, v1 offset:64
.LBB0_12:
	s_wait_alu 0xfffe
	s_or_b32 exec_lo, exec_lo, s1
	v_dual_sub_f32 v78, v32, v10 :: v_dual_add_f32 v65, v37, v15
	v_add_f32_e32 v74, v33, v11
	v_dual_sub_f32 v64, v38, v16 :: v_dual_add_f32 v63, v39, v17
	s_delay_alu instid0(VALU_DEP_3) | instskip(SKIP_1) | instid1(VALU_DEP_3)
	v_mul_f32_e32 v76, 0xbf65296c, v78
	v_dual_mul_f32 v77, 0xbf7ee86f, v78 :: v_dual_add_f32 v38, v31, v25
	v_mul_f32_e32 v67, 0x3f763a35, v64
	v_dual_mul_f32 v66, 0x3eb8f4ab, v64 :: v_dual_add_f32 v59, v41, v23
	s_delay_alu instid0(VALU_DEP_4)
	v_fma_f32 v1, 0x3ee437d1, v74, -v76
	v_sub_f32_e32 v72, v34, v12
	v_fma_f32 v6, 0x3dbcf732, v74, -v77
	global_wb scope:SCOPE_SE
	s_wait_dscnt 0x0
	v_dual_sub_f32 v68, v36, v14 :: v_dual_add_f32 v1, v9, v1
	v_dual_add_f32 v70, v35, v13 :: v_dual_mul_f32 v75, 0xbf4c4adb, v72
	v_dual_mul_f32 v73, 0xbe3c28d5, v72 :: v_dual_add_f32 v6, v9, v6
	s_delay_alu instid0(VALU_DEP_3) | instskip(SKIP_1) | instid1(VALU_DEP_4)
	v_mul_f32_e32 v71, 0x3e3c28d5, v68
	v_dual_mul_f32 v69, 0x3f763a35, v68 :: v_dual_sub_f32 v60, v40, v22
	v_fma_f32 v7, 0xbf1a4643, v70, -v75
	s_delay_alu instid0(VALU_DEP_4)
	v_fma_f32 v8, 0xbf7ba420, v70, -v73
	v_sub_f32_e32 v26, v18, v26
	v_sub_f32_e32 v40, v30, v24
	v_mul_f32_e32 v61, 0xbf65296c, v60
	v_add_f32_e32 v1, v1, v7
	v_fma_f32 v7, 0xbf7ba420, v65, -v71
	v_add_f32_e32 v6, v6, v8
	v_fma_f32 v8, 0xbe8c1d8e, v65, -v69
	v_add_f32_e32 v30, v19, v27
	s_delay_alu instid0(VALU_DEP_4) | instskip(SKIP_1) | instid1(VALU_DEP_4)
	v_dual_mul_f32 v56, 0xbf7ee86f, v26 :: v_dual_add_f32 v1, v1, v7
	v_fma_f32 v7, 0xbe8c1d8e, v63, -v67
	v_dual_add_f32 v6, v6, v8 :: v_dual_mul_f32 v55, 0x3f4c4adb, v26
	v_mul_f32_e32 v57, 0xbf06c442, v40
	v_fma_f32 v8, 0x3f6eb680, v63, -v66
	s_delay_alu instid0(VALU_DEP_4)
	v_dual_add_f32 v1, v1, v7 :: v_dual_mul_f32 v62, 0x3f2c7751, v60
	v_fma_f32 v79, 0x3dbcf732, v30, -v56
	v_mul_f32_e32 v58, 0xbeb8f4ab, v40
	v_fma_f32 v10, 0xbf59a7d5, v38, -v57
	v_fma_f32 v80, 0xbf1a4643, v30, -v55
	;; [unrolled: 1-line block ×3, first 2 shown]
	v_sub_f32_e32 v24, v20, v28
	s_barrier_signal -1
	s_barrier_wait -1
	global_inv scope:SCOPE_SE
	v_add_f32_e32 v1, v1, v7
	v_fma_f32 v7, 0x3f6eb680, v38, -v58
	v_add_f32_e32 v6, v6, v8
	v_fma_f32 v8, 0x3ee437d1, v59, -v61
	v_add_f32_e32 v28, v21, v29
	s_delay_alu instid0(VALU_DEP_4) | instskip(SKIP_1) | instid1(VALU_DEP_4)
	v_dual_mul_f32 v36, 0xbf06c442, v24 :: v_dual_add_f32 v7, v1, v7
	v_mul_f32_e32 v34, 0x3f2c7751, v24
	v_add_f32_e32 v6, v6, v8
	s_delay_alu instid0(VALU_DEP_3) | instskip(NEXT) | instid1(VALU_DEP_2)
	v_dual_add_f32 v7, v7, v79 :: v_dual_lshlrev_b32 v8, 2, v0
	v_add_f32_e32 v32, v6, v10
	s_delay_alu instid0(VALU_DEP_2) | instskip(SKIP_1) | instid1(VALU_DEP_3)
	v_add_nc_u32_e32 v18, 0, v8
	v_add3_u32 v22, 0, v4, v8
	v_add_f32_e32 v79, v32, v80
	s_delay_alu instid0(VALU_DEP_3)
	v_add_nc_u32_e32 v1, v18, v4
	ds_load_b32 v10, v22
	ds_load_2addr_b32 v[46:47], v1 offset0:85 offset1:170
	v_add_nc_u32_e32 v16, 0x200, v1
	v_add_nc_u32_e32 v6, 0x400, v1
	;; [unrolled: 1-line block ×5, first 2 shown]
	ds_load_2addr_b32 v[52:53], v16 offset0:127 offset1:212
	ds_load_2addr_b32 v[50:51], v6 offset0:169 offset1:254
	ds_load_2addr_b32 v[48:49], v14 offset0:83 offset1:168
	ds_load_2addr_b32 v[44:45], v20 offset0:125 offset1:210
	ds_load_2addr_b32 v[42:43], v12 offset0:167 offset1:252
	v_fma_f32 v32, 0xbf59a7d5, v28, -v36
	v_fma_f32 v80, 0x3f3d2fb0, v28, -v34
	global_wb scope:SCOPE_SE
	s_wait_dscnt 0x0
	s_barrier_signal -1
	s_barrier_wait -1
	v_add_f32_e32 v32, v7, v32
	v_add_f32_e32 v7, v79, v80
	global_inv scope:SCOPE_SE
	s_and_saveexec_b32 s1, s0
	s_cbranch_execz .LBB0_14
; %bb.13:
	v_dual_add_f32 v33, v9, v33 :: v_dual_mul_f32 v80, 0x3dbcf732, v74
	v_mul_f32_e32 v82, 0xbf7ba420, v70
	v_mul_f32_e32 v93, 0xbf763a35, v78
	v_dual_mul_f32 v79, 0x3ee437d1, v74 :: v_dual_mul_f32 v86, 0x3ee437d1, v59
	s_delay_alu instid0(VALU_DEP_4) | instskip(SKIP_2) | instid1(VALU_DEP_3)
	v_add_f32_e32 v33, v33, v35
	v_mul_f32_e32 v81, 0xbf1a4643, v70
	v_dual_mul_f32 v83, 0xbe8c1d8e, v65 :: v_dual_mul_f32 v84, 0xbe8c1d8e, v63
	v_dual_mul_f32 v88, 0xbf59a7d5, v38 :: v_dual_add_f32 v33, v33, v37
	v_add_f32_e32 v61, v86, v61
	s_delay_alu instid0(VALU_DEP_3) | instskip(NEXT) | instid1(VALU_DEP_3)
	v_dual_add_f32 v69, v83, v69 :: v_dual_mul_f32 v90, 0xbf59a7d5, v28
	v_add_f32_e32 v57, v88, v57
	s_delay_alu instid0(VALU_DEP_4) | instskip(NEXT) | instid1(VALU_DEP_1)
	v_dual_add_f32 v33, v33, v39 :: v_dual_mul_f32 v92, 0xbf2c7751, v78
	v_dual_add_f32 v36, v90, v36 :: v_dual_add_f32 v33, v33, v41
	v_mul_f32_e32 v94, 0xbf4c4adb, v78
	v_mul_f32_e32 v41, 0xbeb8f4ab, v78
	s_delay_alu instid0(VALU_DEP_4) | instskip(SKIP_3) | instid1(VALU_DEP_2)
	v_fmamk_f32 v97, v74, 0x3f3d2fb0, v92
	v_fma_f32 v92, 0x3f3d2fb0, v74, -v92
	v_add_f32_e32 v31, v33, v31
	v_mul_f32_e32 v33, 0xbf06c442, v78
	v_dual_mul_f32 v78, 0xbe3c28d5, v78 :: v_dual_add_f32 v19, v31, v19
	s_delay_alu instid0(VALU_DEP_1) | instskip(NEXT) | instid1(VALU_DEP_1)
	v_dual_mul_f32 v96, 0xbf7ee86f, v72 :: v_dual_add_f32 v19, v19, v21
	v_add_f32_e32 v19, v19, v29
	v_fmamk_f32 v29, v74, 0xbf1a4643, v94
	s_delay_alu instid0(VALU_DEP_2) | instskip(SKIP_1) | instid1(VALU_DEP_3)
	v_add_f32_e32 v19, v27, v19
	v_fmamk_f32 v27, v74, 0xbf7ba420, v78
	v_add_f32_e32 v29, v9, v29
	s_delay_alu instid0(VALU_DEP_3) | instskip(SKIP_1) | instid1(VALU_DEP_4)
	v_add_f32_e32 v19, v25, v19
	v_fmamk_f32 v25, v70, 0x3dbcf732, v96
	v_add_f32_e32 v27, v9, v27
	s_delay_alu instid0(VALU_DEP_3) | instskip(NEXT) | instid1(VALU_DEP_1)
	v_add_f32_e32 v19, v23, v19
	v_add_f32_e32 v17, v17, v19
	s_delay_alu instid0(VALU_DEP_1) | instskip(NEXT) | instid1(VALU_DEP_1)
	v_add_f32_e32 v15, v15, v17
	v_add_f32_e32 v13, v13, v15
	s_delay_alu instid0(VALU_DEP_1)
	v_add_f32_e32 v11, v11, v13
	v_mul_f32_e32 v13, 0x3f06c442, v72
	v_dual_add_f32 v21, v79, v76 :: v_dual_add_f32 v76, v80, v77
	v_fmamk_f32 v77, v74, 0xbe8c1d8e, v93
	v_mul_f32_e32 v85, 0x3f6eb680, v63
	v_fma_f32 v79, 0xbe8c1d8e, v74, -v93
	v_fma_f32 v80, 0xbf1a4643, v74, -v94
	v_add_f32_e32 v19, v9, v76
	v_dual_add_f32 v76, v9, v77 :: v_dual_fmamk_f32 v31, v74, 0x3f6eb680, v41
	v_add_f32_e32 v66, v85, v66
	v_fma_f32 v41, 0x3f6eb680, v74, -v41
	v_fmamk_f32 v93, v74, 0xbf59a7d5, v33
	v_fma_f32 v33, 0xbf59a7d5, v74, -v33
	v_fma_f32 v74, 0xbf7ba420, v74, -v78
	v_add_f32_e32 v75, v81, v75
	v_add_f32_e32 v23, v9, v41
	;; [unrolled: 1-line block ×13, first 2 shown]
	v_mul_f32_e32 v73, 0x3f763a35, v72
	v_dual_fmamk_f32 v74, v70, 0xbf59a7d5, v13 :: v_dual_add_f32 v19, v19, v41
	v_mul_f32_e32 v41, 0x3f65296c, v72
	v_mul_f32_e32 v35, 0xbf7ba420, v65
	v_add_f32_e32 v21, v21, v75
	s_delay_alu instid0(VALU_DEP_4)
	v_dual_fmamk_f32 v75, v70, 0xbe8c1d8e, v73 :: v_dual_add_f32 v74, v76, v74
	v_mul_f32_e32 v95, 0xbf2c7751, v72
	v_fma_f32 v73, 0xbe8c1d8e, v70, -v73
	v_fmamk_f32 v76, v70, 0x3ee437d1, v41
	v_mul_f32_e32 v72, 0x3eb8f4ab, v72
	v_fma_f32 v41, 0x3ee437d1, v70, -v41
	v_dual_mul_f32 v37, 0x3f3d2fb0, v59 :: v_dual_fmamk_f32 v78, v70, 0x3f3d2fb0, v95
	v_mul_f32_e32 v87, 0x3f6eb680, v38
	v_fma_f32 v94, 0x3f3d2fb0, v70, -v95
	v_fma_f32 v95, 0x3dbcf732, v70, -v96
	;; [unrolled: 1-line block ×3, first 2 shown]
	v_add_f32_e32 v17, v17, v73
	v_dual_add_f32 v73, v79, v76 :: v_dual_fmamk_f32 v76, v70, 0x3f6eb680, v72
	v_add_f32_e32 v33, v33, v41
	v_fma_f32 v41, 0x3f6eb680, v70, -v72
	v_dual_mul_f32 v70, 0xbf4c4adb, v68 :: v_dual_add_f32 v19, v19, v69
	v_add_f32_e32 v35, v35, v71
	v_add_f32_e32 v13, v77, v13
	s_delay_alu instid0(VALU_DEP_4) | instskip(NEXT) | instid1(VALU_DEP_4)
	v_add_f32_e32 v9, v9, v41
	v_fmamk_f32 v41, v65, 0xbf1a4643, v70
	v_fma_f32 v70, 0xbf1a4643, v65, -v70
	v_dual_add_f32 v19, v19, v66 :: v_dual_mul_f32 v66, 0x3f4c4adb, v64
	v_add_f32_e32 v15, v31, v78
	v_add_f32_e32 v31, v81, v95
	;; [unrolled: 1-line block ×3, first 2 shown]
	v_mul_f32_e32 v41, 0x3f2c7751, v68
	v_mul_f32_e32 v91, 0x3f3d2fb0, v28
	v_add_f32_e32 v21, v21, v35
	v_add_f32_e32 v31, v31, v70
	v_mul_f32_e32 v35, 0xbeb8f4ab, v68
	v_fmamk_f32 v70, v65, 0x3f3d2fb0, v41
	v_fma_f32 v41, 0x3f3d2fb0, v65, -v41
	v_mul_f32_e32 v69, 0xbf7ee86f, v68
	v_add_f32_e32 v29, v29, v75
	v_mul_f32_e32 v75, 0xbf65296c, v68
	v_fmamk_f32 v71, v65, 0x3f6eb680, v35
	v_add_f32_e32 v13, v13, v41
	v_fma_f32 v35, 0x3f6eb680, v65, -v35
	v_fmamk_f32 v41, v65, 0x3dbcf732, v69
	v_dual_add_f32 v23, v23, v94 :: v_dual_fmamk_f32 v72, v65, 0x3ee437d1, v75
	v_fma_f32 v75, 0x3ee437d1, v65, -v75
	v_mul_f32_e32 v68, 0xbf06c442, v68
	v_fma_f32 v69, 0x3dbcf732, v65, -v69
	v_add_f32_e32 v17, v17, v35
	v_add_f32_e32 v35, v73, v41
	v_mul_f32_e32 v41, 0xbf7ee86f, v64
	v_add_f32_e32 v23, v23, v75
	v_add_f32_e32 v29, v29, v71
	v_fmamk_f32 v71, v65, 0xbf59a7d5, v68
	v_add_f32_e32 v33, v33, v69
	v_fma_f32 v65, 0xbf59a7d5, v65, -v68
	v_mul_f32_e32 v68, 0xbe3c28d5, v64
	v_fmamk_f32 v69, v63, 0x3dbcf732, v41
	v_fma_f32 v41, 0x3dbcf732, v63, -v41
	v_add_f32_e32 v27, v27, v76
	v_add_f32_e32 v9, v9, v65
	v_fmamk_f32 v65, v63, 0xbf7ba420, v68
	v_fma_f32 v68, 0xbf7ba420, v63, -v68
	v_add_f32_e32 v23, v23, v41
	v_add_f32_e32 v41, v84, v67
	;; [unrolled: 1-line block ×4, first 2 shown]
	v_mul_f32_e32 v65, 0xbf65296c, v64
	v_add_f32_e32 v31, v31, v68
	v_add_f32_e32 v21, v21, v41
	v_mul_f32_e32 v41, 0xbf06c442, v64
	v_mul_f32_e32 v64, 0x3f2c7751, v64
	v_fmamk_f32 v67, v63, 0x3ee437d1, v65
	v_fma_f32 v65, 0x3ee437d1, v63, -v65
	v_add_f32_e32 v19, v19, v61
	v_fmamk_f32 v68, v63, 0xbf59a7d5, v41
	v_fma_f32 v41, 0xbf59a7d5, v63, -v41
	v_mul_f32_e32 v61, 0xbeb8f4ab, v60
	v_add_f32_e32 v13, v13, v65
	v_fmamk_f32 v65, v63, 0xbf1a4643, v66
	v_fma_f32 v66, 0xbf1a4643, v63, -v66
	v_add_f32_e32 v17, v17, v41
	v_mul_f32_e32 v41, 0xbf763a35, v60
	v_add_f32_e32 v27, v27, v71
	v_add_f32_e32 v35, v35, v65
	;; [unrolled: 1-line block ×3, first 2 shown]
	v_fmamk_f32 v65, v63, 0x3f3d2fb0, v64
	v_fmamk_f32 v66, v59, 0xbe8c1d8e, v41
	v_fma_f32 v41, 0xbe8c1d8e, v59, -v41
	v_fma_f32 v63, 0x3f3d2fb0, v63, -v64
	v_dual_mul_f32 v64, 0x3f06c442, v60 :: v_dual_add_f32 v21, v21, v37
	v_mul_f32_e32 v37, 0x3f7ee86f, v60
	s_delay_alu instid0(VALU_DEP_4) | instskip(SKIP_4) | instid1(VALU_DEP_4)
	v_add_f32_e32 v23, v23, v41
	v_mul_f32_e32 v41, 0xbe3c28d5, v60
	v_add_f32_e32 v9, v9, v63
	v_fmamk_f32 v63, v59, 0xbf59a7d5, v64
	v_dual_mul_f32 v60, 0xbf4c4adb, v60 :: v_dual_add_f32 v27, v27, v65
	v_fmamk_f32 v62, v59, 0xbf7ba420, v41
	v_fma_f32 v41, 0xbf7ba420, v59, -v41
	v_fma_f32 v64, 0xbf59a7d5, v59, -v64
	v_add_f32_e32 v25, v25, v63
	v_fmamk_f32 v63, v59, 0x3dbcf732, v37
	v_fma_f32 v37, 0x3dbcf732, v59, -v37
	v_add_f32_e32 v13, v13, v41
	v_fmamk_f32 v41, v59, 0x3f6eb680, v61
	v_fma_f32 v61, 0x3f6eb680, v59, -v61
	v_add_f32_e32 v19, v19, v57
	v_add_f32_e32 v17, v17, v37
	v_mul_f32_e32 v37, 0xbf4c4adb, v40
	v_add_f32_e32 v35, v35, v41
	v_fmamk_f32 v41, v59, 0xbf1a4643, v60
	v_fma_f32 v59, 0xbf1a4643, v59, -v60
	v_dual_mul_f32 v60, 0x3f763a35, v40 :: v_dual_add_f32 v33, v33, v61
	v_fmamk_f32 v61, v38, 0xbf1a4643, v37
	s_delay_alu instid0(VALU_DEP_4) | instskip(SKIP_1) | instid1(VALU_DEP_4)
	v_add_f32_e32 v27, v27, v41
	v_fma_f32 v37, 0xbf1a4643, v38, -v37
	v_fmamk_f32 v41, v38, 0xbe8c1d8e, v60
	v_mul_f32_e32 v57, 0xbe3c28d5, v40
	v_add_f32_e32 v31, v31, v64
	v_add_f32_e32 v9, v9, v59
	;; [unrolled: 1-line block ×4, first 2 shown]
	v_mul_f32_e32 v41, 0x3f7ee86f, v40
	v_mul_f32_e32 v39, 0x3dbcf732, v30
	v_add_f32_e32 v37, v87, v58
	v_fma_f32 v59, 0xbe8c1d8e, v38, -v60
	v_add_f32_e32 v70, v74, v70
	v_fmamk_f32 v58, v38, 0x3dbcf732, v41
	v_fma_f32 v41, 0x3dbcf732, v38, -v41
	v_add_f32_e32 v21, v21, v37
	v_mul_f32_e32 v37, 0xbf2c7751, v40
	v_dual_mul_f32 v40, 0x3f65296c, v40 :: v_dual_add_f32 v31, v31, v59
	s_delay_alu instid0(VALU_DEP_4) | instskip(SKIP_1) | instid1(VALU_DEP_4)
	v_add_f32_e32 v13, v13, v41
	v_fmamk_f32 v41, v38, 0xbf7ba420, v57
	v_fmamk_f32 v59, v38, 0x3f3d2fb0, v37
	v_fma_f32 v37, 0x3f3d2fb0, v38, -v37
	v_fma_f32 v57, 0xbf7ba420, v38, -v57
	v_add_f32_e32 v67, v70, v67
	v_add_f32_e32 v35, v35, v41
	v_fmamk_f32 v41, v38, 0x3ee437d1, v40
	v_fma_f32 v38, 0x3ee437d1, v38, -v40
	v_dual_mul_f32 v40, 0x3f65296c, v26 :: v_dual_add_f32 v17, v17, v37
	v_mul_f32_e32 v37, 0xbf06c442, v26
	v_add_f32_e32 v62, v67, v62
	s_delay_alu instid0(VALU_DEP_3) | instskip(SKIP_1) | instid1(VALU_DEP_4)
	v_dual_add_f32 v9, v9, v38 :: v_dual_fmamk_f32 v38, v30, 0x3ee437d1, v40
	v_add_f32_e32 v33, v33, v57
	v_fmamk_f32 v57, v30, 0xbf59a7d5, v37
	v_fma_f32 v37, 0xbf59a7d5, v30, -v37
	v_fma_f32 v40, 0x3ee437d1, v30, -v40
	v_add_f32_e32 v25, v25, v38
	v_mul_f32_e32 v38, 0xbeb8f4ab, v26
	s_delay_alu instid0(VALU_DEP_4) | instskip(SKIP_1) | instid1(VALU_DEP_3)
	v_dual_add_f32 v58, v62, v58 :: v_dual_add_f32 v23, v23, v37
	v_add_f32_e32 v37, v39, v56
	v_dual_add_f32 v31, v31, v40 :: v_dual_fmamk_f32 v40, v30, 0x3f6eb680, v38
	v_mul_f32_e32 v89, 0xbf1a4643, v30
	v_add_f32_e32 v27, v27, v41
	s_delay_alu instid0(VALU_DEP_4) | instskip(NEXT) | instid1(VALU_DEP_4)
	v_add_f32_e32 v21, v21, v37
	v_dual_mul_f32 v37, 0xbe3c28d5, v26 :: v_dual_add_f32 v40, v58, v40
	s_delay_alu instid0(VALU_DEP_4) | instskip(SKIP_2) | instid1(VALU_DEP_4)
	v_add_f32_e32 v39, v89, v55
	v_fma_f32 v38, 0x3f6eb680, v30, -v38
	v_add_f32_e32 v29, v29, v68
	v_fmamk_f32 v41, v30, 0xbf7ba420, v37
	v_fma_f32 v37, 0xbf7ba420, v30, -v37
	v_add_f32_e32 v19, v19, v39
	v_mul_f32_e32 v39, 0x3f2c7751, v26
	v_add_f32_e32 v13, v13, v38
	s_delay_alu instid0(VALU_DEP_4) | instskip(SKIP_1) | instid1(VALU_DEP_4)
	v_dual_mul_f32 v26, 0xbf763a35, v26 :: v_dual_add_f32 v17, v17, v37
	v_mul_f32_e32 v37, 0xbe3c28d5, v24
	v_fmamk_f32 v38, v30, 0x3f3d2fb0, v39
	v_fma_f32 v39, 0x3f3d2fb0, v30, -v39
	v_add_f32_e32 v29, v29, v63
	v_add_f32_e32 v21, v21, v36
	s_delay_alu instid0(VALU_DEP_4) | instskip(SKIP_4) | instid1(VALU_DEP_4)
	v_dual_add_f32 v35, v35, v38 :: v_dual_fmamk_f32 v38, v30, 0xbe8c1d8e, v26
	v_fma_f32 v26, 0xbe8c1d8e, v30, -v26
	v_dual_fmamk_f32 v30, v28, 0xbf7ba420, v37 :: v_dual_add_f32 v15, v15, v72
	v_add_f32_e32 v33, v33, v39
	v_mul_f32_e32 v39, 0x3eb8f4ab, v24
	v_add_f32_e32 v9, v9, v26
	v_fma_f32 v37, 0xbf7ba420, v28, -v37
	v_add_f32_e32 v15, v15, v69
	v_add_f32_e32 v29, v29, v59
	v_fma_f32 v26, 0x3f6eb680, v28, -v39
	v_add_f32_e32 v27, v27, v38
	v_add_f32_e32 v23, v23, v37
	;; [unrolled: 1-line block ×3, first 2 shown]
	s_delay_alu instid0(VALU_DEP_4) | instskip(SKIP_1) | instid1(VALU_DEP_3)
	v_dual_add_f32 v29, v29, v41 :: v_dual_add_f32 v26, v31, v26
	v_dual_add_f32 v31, v91, v34 :: v_dual_mul_f32 v34, 0x3f65296c, v24
	v_dual_add_f32 v15, v15, v61 :: v_dual_fmamk_f32 v38, v28, 0x3f6eb680, v39
	s_delay_alu instid0(VALU_DEP_2) | instskip(NEXT) | instid1(VALU_DEP_3)
	v_add_f32_e32 v19, v19, v31
	v_fmamk_f32 v31, v28, 0x3ee437d1, v34
	s_delay_alu instid0(VALU_DEP_3) | instskip(SKIP_2) | instid1(VALU_DEP_4)
	v_add_f32_e32 v15, v15, v57
	v_fma_f32 v34, 0x3ee437d1, v28, -v34
	v_add_f32_e32 v25, v25, v38
	v_add_f32_e32 v29, v29, v31
	s_delay_alu instid0(VALU_DEP_4) | instskip(SKIP_2) | instid1(VALU_DEP_3)
	v_dual_add_f32 v15, v15, v30 :: v_dual_mul_f32 v30, 0xbf4c4adb, v24
	v_lshlrev_b32_e32 v31, 6, v0
	v_add_f32_e32 v17, v17, v34
	v_fmamk_f32 v37, v28, 0xbf1a4643, v30
	v_fma_f32 v30, 0xbf1a4643, v28, -v30
	s_delay_alu instid0(VALU_DEP_4) | instskip(NEXT) | instid1(VALU_DEP_2)
	v_add3_u32 v18, v18, v31, v4
	v_dual_add_f32 v36, v40, v37 :: v_dual_add_f32 v13, v13, v30
	v_mul_f32_e32 v30, 0xbf763a35, v24
	v_mul_f32_e32 v24, 0x3f7ee86f, v24
	s_delay_alu instid0(VALU_DEP_2) | instskip(NEXT) | instid1(VALU_DEP_2)
	v_fmamk_f32 v34, v28, 0xbe8c1d8e, v30
	v_fmamk_f32 v37, v28, 0x3dbcf732, v24
	v_fma_f32 v24, 0x3dbcf732, v28, -v24
	v_fma_f32 v30, 0xbe8c1d8e, v28, -v30
	s_delay_alu instid0(VALU_DEP_4) | instskip(NEXT) | instid1(VALU_DEP_4)
	v_add_f32_e32 v28, v35, v34
	v_add_f32_e32 v27, v27, v37
	s_delay_alu instid0(VALU_DEP_4) | instskip(NEXT) | instid1(VALU_DEP_4)
	v_add_f32_e32 v9, v9, v24
	v_add_f32_e32 v30, v33, v30
	ds_store_2addr_b32 v18, v11, v15 offset1:1
	ds_store_2addr_b32 v18, v25, v21 offset0:2 offset1:3
	ds_store_2addr_b32 v18, v19, v36 offset0:4 offset1:5
	;; [unrolled: 1-line block ×7, first 2 shown]
	ds_store_b32 v18, v23 offset:64
.LBB0_14:
	s_wait_alu 0xfffe
	s_or_b32 exec_lo, exec_lo, s1
	v_and_b32_e32 v9, 0xff, v0
	global_wb scope:SCOPE_SE
	s_wait_dscnt 0x0
	s_barrier_signal -1
	s_barrier_wait -1
	global_inv scope:SCOPE_SE
	v_mul_lo_u16 v9, 0xf1, v9
	v_cmp_gt_u32_e64 s0, 51, v0
	s_delay_alu instid0(VALU_DEP_2) | instskip(NEXT) | instid1(VALU_DEP_1)
	v_lshrrev_b16 v9, 12, v9
	v_mul_lo_u16 v11, v9, 17
	s_delay_alu instid0(VALU_DEP_1) | instskip(NEXT) | instid1(VALU_DEP_1)
	v_sub_nc_u16 v11, v0, v11
	v_and_b32_e32 v11, 0xff, v11
	s_delay_alu instid0(VALU_DEP_1) | instskip(NEXT) | instid1(VALU_DEP_1)
	v_mul_u32_u24_e32 v13, 12, v11
	v_lshlrev_b32_e32 v13, 3, v13
	s_clause 0x5
	global_load_b128 v[33:36], v13, s[4:5]
	global_load_b128 v[60:63], v13, s[4:5] offset:16
	global_load_b128 v[64:67], v13, s[4:5] offset:32
	;; [unrolled: 1-line block ×5, first 2 shown]
	ds_load_2addr_b32 v[17:18], v1 offset0:85 offset1:170
	ds_load_2addr_b32 v[15:16], v16 offset0:127 offset1:212
	;; [unrolled: 1-line block ×3, first 2 shown]
	s_wait_loadcnt 0x5
	v_dual_mul_f32 v58, v46, v34 :: v_dual_and_b32 v9, 0xffff, v9
	s_wait_loadcnt 0x4
	v_mul_f32_e32 v30, v53, v63
	s_wait_loadcnt 0x3
	v_dual_mul_f32 v26, v50, v65 :: v_dual_lshlrev_b32 v13, 2, v11
	ds_load_b32 v39, v22
	ds_load_2addr_b32 v[80:81], v14 offset0:83 offset1:168
	ds_load_2addr_b32 v[82:83], v20 offset0:125 offset1:210
	;; [unrolled: 1-line block ×3, first 2 shown]
	v_mad_u32_u24 v9, 0x374, v9, 0
	v_mul_f32_e32 v57, v47, v36
	s_wait_loadcnt_dscnt 0x105
	v_dual_mul_f32 v19, v15, v61 :: v_dual_mul_f32 v38, v45, v75
	v_mul_f32_e32 v28, v16, v63
	v_add3_u32 v9, v9, v13, v4
	v_dual_mul_f32 v4, v17, v34 :: v_dual_mul_f32 v13, v18, v36
	s_wait_dscnt 0x4
	v_mul_f32_e32 v34, v25, v67
	s_wait_loadcnt 0x0
	v_dual_mul_f32 v21, v51, v67 :: v_dual_mul_f32 v56, v42, v77
	v_mul_f32_e32 v29, v24, v65
	v_mul_f32_e32 v37, v52, v61
	v_dual_mul_f32 v27, v49, v71 :: v_dual_fmac_f32 v26, v24, v64
	v_fma_f32 v59, v46, v33, -v4
	v_fmac_f32_e32 v58, v17, v33
	s_wait_dscnt 0x2
	v_dual_mul_f32 v36, v80, v69 :: v_dual_mul_f32 v41, v81, v71
	s_wait_dscnt 0x1
	v_dual_fmac_f32 v30, v16, v62 :: v_dual_mul_f32 v63, v83, v75
	v_fma_f32 v46, v47, v35, -v13
	v_fma_f32 v40, v52, v60, -v19
	;; [unrolled: 1-line block ×3, first 2 shown]
	v_fmac_f32_e32 v21, v25, v66
	v_fma_f32 v25, v48, v68, -v36
	v_fmac_f32_e32 v57, v18, v35
	v_fma_f32 v35, v53, v62, -v28
	s_wait_dscnt 0x0
	v_dual_mul_f32 v61, v82, v73 :: v_dual_fmac_f32 v56, v11, v76
	v_fma_f32 v28, v50, v64, -v29
	v_fma_f32 v29, v49, v70, -v41
	;; [unrolled: 1-line block ×3, first 2 shown]
	v_mul_f32_e32 v55, v43, v79
	v_dual_mul_f32 v23, v48, v69 :: v_dual_add_f32 v4, v10, v59
	v_fma_f32 v36, v44, v72, -v61
	v_fmac_f32_e32 v38, v83, v74
	v_dual_fmac_f32 v37, v15, v60 :: v_dual_add_f32 v16, v40, v41
	s_delay_alu instid0(VALU_DEP_4)
	v_add_f32_e32 v4, v4, v46
	v_fmac_f32_e32 v55, v12, v78
	v_mul_f32_e32 v31, v44, v73
	v_dual_add_f32 v44, v24, v25 :: v_dual_sub_f32 v15, v57, v56
	v_mul_f32_e32 v67, v12, v79
	v_add_f32_e32 v4, v4, v40
	v_fmac_f32_e32 v23, v80, v68
	v_add_f32_e32 v18, v35, v36
	v_mul_f32_e32 v62, 0x3f7e222b, v15
	v_dual_sub_f32 v12, v58, v55 :: v_dual_fmac_f32 v27, v81, v70
	v_dual_fmac_f32 v31, v82, v72 :: v_dual_mul_f32 v60, 0xbe750f2a, v15
	s_delay_alu instid0(VALU_DEP_2)
	v_dual_add_f32 v4, v4, v35 :: v_dual_mul_f32 v47, 0xbeedf032, v12
	v_mul_f32_e32 v48, 0xbf52af12, v12
	v_fma_f32 v43, v43, v78, -v67
	v_mul_f32_e32 v49, 0xbf7e222b, v12
	v_mul_f32_e32 v50, 0xbf6f5d39, v12
	;; [unrolled: 1-line block ×3, first 2 shown]
	v_dual_mul_f32 v12, 0xbe750f2a, v12 :: v_dual_mul_f32 v65, v11, v77
	v_sub_f32_e32 v34, v26, v27
	v_dual_sub_f32 v19, v30, v31 :: v_dual_add_f32 v4, v4, v28
	global_wb scope:SCOPE_SE
	v_fma_f32 v42, v42, v76, -v65
	v_mul_f32_e32 v74, 0x3f7e222b, v34
	v_dual_sub_f32 v17, v37, v38 :: v_dual_mul_f32 v70, 0x3eedf032, v19
	v_add_f32_e32 v11, v59, v43
	s_delay_alu instid0(VALU_DEP_4) | instskip(NEXT) | instid1(VALU_DEP_3)
	v_dual_add_f32 v13, v46, v42 :: v_dual_mul_f32 v68, 0xbf6f5d39, v19
	v_mul_f32_e32 v66, 0x3eedf032, v17
	v_mul_f32_e32 v64, 0xbe750f2a, v17
	s_delay_alu instid0(VALU_DEP_4) | instskip(SKIP_4) | instid1(VALU_DEP_4)
	v_fma_f32 v85, 0x3df6dbef, v11, -v49
	v_fmac_f32_e32 v49, 0x3df6dbef, v11
	v_fma_f32 v88, 0xbf788fa5, v11, -v12
	v_fma_f32 v92, 0x3df6dbef, v13, -v62
	v_fmac_f32_e32 v62, 0x3df6dbef, v13
	v_dual_fmac_f32 v12, 0xbf788fa5, v11 :: v_dual_add_f32 v49, v10, v49
	v_dual_mul_f32 v67, 0xbf52af12, v17 :: v_dual_mul_f32 v52, 0xbf52af12, v15
	v_dual_sub_f32 v45, v21, v23 :: v_dual_mul_f32 v76, 0x3e750f2a, v34
	v_mul_f32_e32 v53, 0xbf6f5d39, v15
	v_fma_f32 v83, 0x3f62ad3f, v11, -v47
	v_fmac_f32_e32 v47, 0x3f62ad3f, v11
	v_fma_f32 v84, 0x3f116cb1, v11, -v48
	v_fmac_f32_e32 v48, 0x3f116cb1, v11
	;; [unrolled: 2-line block ×3, first 2 shown]
	v_mul_f32_e32 v61, 0x3f29c268, v15
	v_mul_f32_e32 v15, 0x3eedf032, v15
	v_dual_add_f32 v33, v28, v29 :: v_dual_mul_f32 v72, 0x3e750f2a, v19
	v_mul_f32_e32 v75, 0xbf52af12, v34
	v_dual_mul_f32 v78, 0xbe750f2a, v45 :: v_dual_add_f32 v47, v10, v47
	v_mul_f32_e32 v80, 0xbf29c268, v45
	v_fma_f32 v86, 0xbeb58ec6, v11, -v50
	v_fmac_f32_e32 v50, 0xbeb58ec6, v11
	v_fma_f32 v87, 0xbf3f9e67, v11, -v51
	v_mul_f32_e32 v65, 0x3f6f5d39, v17
	v_fmac_f32_e32 v51, 0xbf3f9e67, v11
	v_fma_f32 v11, 0x3f116cb1, v13, -v52
	v_fmac_f32_e32 v52, 0x3f116cb1, v13
	v_mul_f32_e32 v73, 0xbf29c268, v34
	v_fma_f32 v93, 0x3f62ad3f, v13, -v15
	v_mul_f32_e32 v77, 0x3eedf032, v34
	v_mul_f32_e32 v34, 0xbf6f5d39, v34
	v_fma_f32 v89, 0xbeb58ec6, v13, -v53
	v_fmac_f32_e32 v53, 0xbeb58ec6, v13
	v_dual_mul_f32 v63, 0xbf7e222b, v17 :: v_dual_add_f32 v50, v10, v50
	v_mul_f32_e32 v17, 0xbf29c268, v17
	v_dual_mul_f32 v81, 0x3f52af12, v45 :: v_dual_add_f32 v4, v4, v24
	v_mul_f32_e32 v82, 0xbf6f5d39, v45
	v_fma_f32 v90, 0xbf788fa5, v13, -v60
	v_mul_f32_e32 v69, 0x3f29c268, v19
	v_fmac_f32_e32 v60, 0xbf788fa5, v13
	v_fmac_f32_e32 v15, 0x3f62ad3f, v13
	v_fma_f32 v95, 0xbeb58ec6, v16, -v65
	v_fma_f32 v96, 0x3f62ad3f, v16, -v66
	v_fmac_f32_e32 v66, 0x3f62ad3f, v16
	v_mul_f32_e32 v79, 0x3eedf032, v45
	v_fma_f32 v104, 0x3df6dbef, v33, -v74
	v_fmac_f32_e32 v74, 0x3df6dbef, v33
	v_add_f32_e32 v48, v10, v48
	v_fma_f32 v91, 0xbf3f9e67, v13, -v61
	v_mul_f32_e32 v71, 0xbf7e222b, v19
	v_fmac_f32_e32 v61, 0xbf3f9e67, v13
	v_mul_f32_e32 v19, 0x3f52af12, v19
	v_fma_f32 v13, 0x3df6dbef, v16, -v63
	v_fmac_f32_e32 v63, 0x3df6dbef, v16
	v_mul_f32_e32 v45, 0x3f7e222b, v45
	v_fma_f32 v94, 0xbf788fa5, v16, -v64
	v_fmac_f32_e32 v65, 0xbeb58ec6, v16
	v_fma_f32 v98, 0xbf3f9e67, v16, -v17
	v_fmac_f32_e32 v17, 0xbf3f9e67, v16
	;; [unrolled: 2-line block ×6, first 2 shown]
	v_fma_f32 v105, 0x3f116cb1, v33, -v75
	v_fma_f32 v106, 0xbf788fa5, v33, -v76
	v_fmac_f32_e32 v76, 0xbf788fa5, v33
	v_fma_f32 v107, 0x3f62ad3f, v33, -v77
	v_fmac_f32_e32 v77, 0x3f62ad3f, v33
	;; [unrolled: 2-line block ×3, first 2 shown]
	v_fma_f32 v109, 0x3f62ad3f, v44, -v79
	v_dual_fmac_f32 v79, 0x3f62ad3f, v44 :: v_dual_add_f32 v4, v4, v25
	v_fma_f32 v110, 0xbf3f9e67, v44, -v80
	v_fmac_f32_e32 v80, 0xbf3f9e67, v44
	v_dual_fmac_f32 v64, 0xbf788fa5, v16 :: v_dual_add_f32 v51, v10, v51
	v_fma_f32 v16, 0xbeb58ec6, v18, -v68
	v_fmac_f32_e32 v68, 0xbeb58ec6, v18
	v_fmac_f32_e32 v75, 0x3f116cb1, v33
	v_fma_f32 v111, 0x3f116cb1, v44, -v81
	v_fmac_f32_e32 v81, 0x3f116cb1, v44
	v_fma_f32 v112, 0xbeb58ec6, v44, -v82
	;; [unrolled: 2-line block ×3, first 2 shown]
	v_add_f32_e32 v50, v61, v50
	v_fma_f32 v103, 0x3f116cb1, v18, -v19
	v_fmac_f32_e32 v19, 0x3f116cb1, v18
	v_fma_f32 v18, 0xbf3f9e67, v33, -v73
	v_fmac_f32_e32 v73, 0xbf3f9e67, v33
	;; [unrolled: 2-line block ×3, first 2 shown]
	v_dual_fmac_f32 v45, 0x3df6dbef, v44 :: v_dual_add_f32 v44, v10, v83
	v_add_f32_e32 v83, v10, v84
	v_add_f32_e32 v84, v10, v85
	;; [unrolled: 1-line block ×6, first 2 shown]
	v_dual_add_f32 v11, v11, v44 :: v_dual_add_f32 v12, v52, v47
	v_add_f32_e32 v44, v89, v83
	v_add_f32_e32 v47, v53, v48
	;; [unrolled: 1-line block ×6, first 2 shown]
	v_dual_add_f32 v10, v15, v10 :: v_dual_add_f32 v11, v13, v11
	v_add_f32_e32 v12, v63, v12
	v_dual_add_f32 v13, v94, v44 :: v_dual_add_f32 v4, v4, v29
	v_add_f32_e32 v44, v95, v48
	;; [unrolled: 2-line block ×3, first 2 shown]
	v_add_f32_e32 v15, v64, v47
	v_add_f32_e32 v11, v16, v11
	;; [unrolled: 1-line block ×6, first 2 shown]
	v_dual_add_f32 v49, v66, v50 :: v_dual_add_f32 v50, v97, v53
	v_add_f32_e32 v10, v17, v10
	v_add_f32_e32 v12, v73, v12
	v_dual_add_f32 v52, v98, v60 :: v_dual_add_f32 v51, v67, v51
	v_add_f32_e32 v16, v105, v16
	s_delay_alu instid0(VALU_DEP_4) | instskip(SKIP_1) | instid1(VALU_DEP_4)
	v_dual_add_f32 v10, v19, v10 :: v_dual_add_f32 v15, v69, v15
	v_add_f32_e32 v48, v102, v50
	v_add_f32_e32 v50, v103, v52
	s_delay_alu instid0(VALU_DEP_3)
	v_dual_add_f32 v13, v99, v13 :: v_dual_add_f32 v34, v34, v10
	v_add_f32_e32 v11, v18, v11
	v_add_f32_e32 v18, v106, v44
	;; [unrolled: 1-line block ×4, first 2 shown]
	v_dual_add_f32 v13, v104, v13 :: v_dual_add_f32 v34, v45, v34
	v_add_f32_e32 v17, v70, v47
	v_add_f32_e32 v47, v71, v49
	;; [unrolled: 1-line block ×4, first 2 shown]
	s_barrier_signal -1
	s_barrier_wait -1
	v_add_f32_e32 v19, v76, v47
	v_add_f32_e32 v47, v77, v49
	;; [unrolled: 1-line block ×6, first 2 shown]
	v_dual_add_f32 v13, v110, v16 :: v_dual_add_f32 v16, v111, v18
	v_add_f32_e32 v18, v112, v44
	v_add_f32_e32 v44, v82, v47
	s_delay_alu instid0(VALU_DEP_4)
	v_dual_add_f32 v10, v80, v17 :: v_dual_add_f32 v33, v33, v11
	v_add_f32_e32 v11, v79, v15
	v_add_f32_e32 v15, v49, v41
	;; [unrolled: 1-line block ×4, first 2 shown]
	global_inv scope:SCOPE_SE
	ds_store_2addr_b32 v9, v12, v13 offset0:34 offset1:51
	ds_store_2addr_b32 v9, v16, v18 offset0:68 offset1:85
	v_add_f32_e32 v15, v15, v42
	s_delay_alu instid0(VALU_DEP_1)
	v_add_f32_e32 v12, v15, v43
	ds_store_2addr_b32 v9, v19, v34 offset0:102 offset1:119
	ds_store_2addr_b32 v9, v44, v17 offset0:136 offset1:153
	;; [unrolled: 1-line block ×3, first 2 shown]
	ds_store_b32 v9, v4 offset:816
	ds_store_2addr_b32 v9, v12, v33 offset1:17
	global_wb scope:SCOPE_SE
	s_wait_dscnt 0x0
	s_barrier_signal -1
	s_barrier_wait -1
	global_inv scope:SCOPE_SE
	ds_load_2addr_b32 v[12:13], v1 offset0:85 offset1:221
	ds_load_2addr_b32 v[16:17], v6 offset0:50 offset1:186
	;; [unrolled: 1-line block ×4, first 2 shown]
	ds_load_b32 v33, v22
	ds_load_b32 v34, v1 offset:3876
	s_and_saveexec_b32 s1, s0
	s_cbranch_execz .LBB0_16
; %bb.15:
	v_add_nc_u32_e32 v4, 0x280, v1
	v_add_nc_u32_e32 v5, 0x980, v1
	ds_load_2addr_b32 v[10:11], v4 offset0:10 offset1:231
	ds_load_2addr_b32 v[4:5], v5 offset0:4 offset1:225
	ds_load_b32 v54, v1 offset:4216
.LBB0_16:
	s_wait_alu 0xfffe
	s_or_b32 exec_lo, exec_lo, s1
	v_add_f32_e32 v6, v39, v58
	v_sub_f32_e32 v42, v46, v42
	v_sub_f32_e32 v20, v59, v43
	v_dual_add_f32 v43, v58, v55 :: v_dual_sub_f32 v40, v40, v41
	s_delay_alu instid0(VALU_DEP_3) | instskip(NEXT) | instid1(VALU_DEP_3)
	v_dual_sub_f32 v24, v24, v25 :: v_dual_mul_f32 v51, 0xbf6f5d39, v42
	v_dual_add_f32 v6, v6, v57 :: v_dual_mul_f32 v47, 0xbf7e222b, v20
	v_mul_f32_e32 v45, 0xbeedf032, v20
	v_mul_f32_e32 v49, 0xbf29c268, v20
	v_dual_add_f32 v44, v57, v56 :: v_dual_mul_f32 v53, 0x3f29c268, v42
	s_delay_alu instid0(VALU_DEP_4)
	v_add_f32_e32 v6, v6, v37
	global_wb scope:SCOPE_SE
	s_wait_dscnt 0x0
	v_fmamk_f32 v57, v43, 0x3f62ad3f, v45
	v_mul_f32_e32 v46, 0xbf52af12, v20
	v_fma_f32 v45, 0x3f62ad3f, v43, -v45
	v_add_f32_e32 v6, v6, v30
	v_mul_f32_e32 v48, 0xbf6f5d39, v20
	v_fmamk_f32 v59, v43, 0x3df6dbef, v47
	v_fma_f32 v47, 0x3df6dbef, v43, -v47
	s_delay_alu instid0(VALU_DEP_4) | instskip(NEXT) | instid1(VALU_DEP_3)
	v_dual_add_f32 v45, v39, v45 :: v_dual_add_f32 v6, v6, v26
	v_dual_mul_f32 v20, 0xbe750f2a, v20 :: v_dual_add_f32 v59, v39, v59
	s_delay_alu instid0(VALU_DEP_3) | instskip(NEXT) | instid1(VALU_DEP_3)
	v_dual_mul_f32 v50, 0xbf52af12, v42 :: v_dual_add_f32 v47, v39, v47
	v_dual_add_f32 v6, v6, v21 :: v_dual_fmamk_f32 v61, v43, 0xbf3f9e67, v49
	v_dual_fmamk_f32 v60, v43, 0xbeb58ec6, v48 :: v_dual_fmamk_f32 v63, v44, 0xbeb58ec6, v51
	v_fma_f32 v48, 0xbeb58ec6, v43, -v48
	s_delay_alu instid0(VALU_DEP_3)
	v_add_f32_e32 v6, v6, v23
	v_fma_f32 v49, 0xbf3f9e67, v43, -v49
	v_fmamk_f32 v62, v43, 0xbf788fa5, v20
	v_fma_f32 v20, 0xbf788fa5, v43, -v20
	v_add_f32_e32 v57, v39, v57
	v_fmamk_f32 v58, v43, 0x3f116cb1, v46
	v_fma_f32 v46, 0x3f116cb1, v43, -v46
	v_dual_fmamk_f32 v43, v44, 0x3f116cb1, v50 :: v_dual_add_f32 v6, v6, v27
	v_dual_add_f32 v49, v39, v49 :: v_dual_mul_f32 v52, 0xbe750f2a, v42
	v_add_f32_e32 v61, v39, v61
	v_fma_f32 v50, 0x3f116cb1, v44, -v50
	s_delay_alu instid0(VALU_DEP_4)
	v_add_f32_e32 v6, v6, v31
	v_fma_f32 v51, 0xbeb58ec6, v44, -v51
	v_add_f32_e32 v46, v39, v46
	v_add_f32_e32 v60, v39, v60
	;; [unrolled: 1-line block ×4, first 2 shown]
	v_dual_add_f32 v48, v39, v48 :: v_dual_add_f32 v37, v37, v38
	v_mul_f32_e32 v38, 0xbf7e222b, v40
	v_add_f32_e32 v20, v39, v20
	s_delay_alu instid0(VALU_DEP_4) | instskip(SKIP_3) | instid1(VALU_DEP_4)
	v_add_f32_e32 v6, v6, v56
	v_add_f32_e32 v56, v39, v62
	;; [unrolled: 1-line block ×3, first 2 shown]
	v_dual_add_f32 v43, v50, v45 :: v_dual_fmamk_f32 v50, v44, 0xbf788fa5, v52
	v_add_f32_e32 v45, v6, v55
	v_mul_f32_e32 v55, 0x3f7e222b, v42
	v_dual_mul_f32 v42, 0x3eedf032, v42 :: v_dual_sub_f32 v35, v35, v36
	v_add_f32_e32 v26, v26, v27
	v_sub_f32_e32 v28, v28, v29
	s_delay_alu instid0(VALU_DEP_4) | instskip(SKIP_1) | instid1(VALU_DEP_3)
	v_dual_fmamk_f32 v41, v44, 0x3df6dbef, v55 :: v_dual_add_f32 v46, v51, v46
	v_fma_f32 v51, 0xbf788fa5, v44, -v52
	v_dual_add_f32 v30, v30, v31 :: v_dual_mul_f32 v27, 0xbf29c268, v28
	s_delay_alu instid0(VALU_DEP_3) | instskip(SKIP_1) | instid1(VALU_DEP_3)
	v_add_f32_e32 v41, v41, v61
	s_barrier_signal -1
	v_dual_add_f32 v47, v51, v47 :: v_dual_fmamk_f32 v52, v44, 0xbf3f9e67, v53
	v_fma_f32 v53, 0xbf3f9e67, v44, -v53
	v_mul_f32_e32 v31, 0xbf6f5d39, v35
	s_barrier_wait -1
	global_inv scope:SCOPE_SE
	v_add_f32_e32 v51, v52, v60
	v_fma_f32 v52, 0x3df6dbef, v44, -v55
	v_dual_add_f32 v48, v53, v48 :: v_dual_fmamk_f32 v53, v44, 0x3f62ad3f, v42
	v_fma_f32 v42, 0x3f62ad3f, v44, -v42
	v_add_f32_e32 v6, v63, v58
	s_delay_alu instid0(VALU_DEP_4) | instskip(SKIP_1) | instid1(VALU_DEP_4)
	v_dual_add_f32 v44, v52, v49 :: v_dual_fmamk_f32 v49, v37, 0x3df6dbef, v38
	v_fma_f32 v38, 0x3df6dbef, v37, -v38
	v_add_f32_e32 v20, v42, v20
	v_add_f32_e32 v53, v53, v56
	v_mul_f32_e32 v25, 0xbf6f5d39, v28
	v_dual_add_f32 v39, v49, v39 :: v_dual_mul_f32 v52, 0xbe750f2a, v40
	v_dual_add_f32 v50, v50, v59 :: v_dual_mul_f32 v49, 0x3f6f5d39, v40
	;; [unrolled: 1-line block ×3, first 2 shown]
	s_delay_alu instid0(VALU_DEP_3) | instskip(SKIP_2) | instid1(VALU_DEP_3)
	v_fmamk_f32 v42, v37, 0xbf788fa5, v52
	v_fma_f32 v52, 0xbf788fa5, v37, -v52
	v_add_f32_e32 v23, v21, v23
	v_dual_mul_f32 v21, 0xbe750f2a, v24 :: v_dual_add_f32 v6, v42, v6
	v_fmamk_f32 v42, v37, 0xbeb58ec6, v49
	s_delay_alu instid0(VALU_DEP_4) | instskip(SKIP_3) | instid1(VALU_DEP_3)
	v_add_f32_e32 v46, v52, v46
	v_fma_f32 v49, 0xbeb58ec6, v37, -v49
	v_fmamk_f32 v52, v37, 0x3f62ad3f, v43
	v_fma_f32 v43, 0x3f62ad3f, v37, -v43
	v_dual_add_f32 v42, v42, v50 :: v_dual_add_f32 v47, v49, v47
	s_delay_alu instid0(VALU_DEP_3) | instskip(NEXT) | instid1(VALU_DEP_3)
	v_add_f32_e32 v49, v52, v51
	v_add_f32_e32 v43, v43, v48
	v_mul_f32_e32 v50, 0xbf52af12, v40
	v_mul_f32_e32 v40, 0xbf29c268, v40
	s_delay_alu instid0(VALU_DEP_2) | instskip(SKIP_1) | instid1(VALU_DEP_2)
	v_fmamk_f32 v36, v37, 0x3f116cb1, v50
	v_fma_f32 v48, 0x3f116cb1, v37, -v50
	v_dual_add_f32 v36, v36, v41 :: v_dual_fmamk_f32 v41, v37, 0xbf3f9e67, v40
	v_fma_f32 v37, 0xbf3f9e67, v37, -v40
	s_delay_alu instid0(VALU_DEP_3)
	v_add_f32_e32 v40, v48, v44
	v_fmamk_f32 v44, v30, 0xbeb58ec6, v31
	v_mul_f32_e32 v48, 0x3f29c268, v35
	v_fma_f32 v31, 0xbeb58ec6, v30, -v31
	v_add_f32_e32 v20, v37, v20
	v_add_f32_e32 v41, v41, v53
	;; [unrolled: 1-line block ×3, first 2 shown]
	v_fmamk_f32 v39, v30, 0xbf3f9e67, v48
	v_mul_f32_e32 v44, 0x3eedf032, v35
	v_fma_f32 v48, 0xbf3f9e67, v30, -v48
	s_delay_alu instid0(VALU_DEP_2) | instskip(NEXT) | instid1(VALU_DEP_2)
	v_dual_add_f32 v6, v39, v6 :: v_dual_fmamk_f32 v39, v30, 0x3f62ad3f, v44
	v_add_f32_e32 v46, v48, v46
	v_fma_f32 v44, 0x3f62ad3f, v30, -v44
	s_delay_alu instid0(VALU_DEP_3) | instskip(SKIP_2) | instid1(VALU_DEP_3)
	v_dual_add_f32 v39, v39, v42 :: v_dual_mul_f32 v42, 0x3e750f2a, v35
	v_dual_add_f32 v31, v31, v38 :: v_dual_mul_f32 v38, 0xbf7e222b, v35
	v_mul_f32_e32 v35, 0x3f52af12, v35
	v_dual_add_f32 v44, v44, v47 :: v_dual_fmamk_f32 v29, v30, 0xbf788fa5, v42
	v_fma_f32 v42, 0xbf788fa5, v30, -v42
	s_delay_alu instid0(VALU_DEP_4) | instskip(SKIP_1) | instid1(VALU_DEP_4)
	v_fmamk_f32 v48, v30, 0x3df6dbef, v38
	v_fma_f32 v38, 0x3df6dbef, v30, -v38
	v_dual_add_f32 v29, v29, v36 :: v_dual_fmamk_f32 v36, v30, 0x3f116cb1, v35
	v_fma_f32 v30, 0x3f116cb1, v30, -v35
	v_fmamk_f32 v35, v26, 0xbf3f9e67, v27
	v_add_f32_e32 v40, v42, v40
	v_mul_f32_e32 v42, 0x3f7e222b, v28
	v_add_f32_e32 v36, v36, v41
	v_fma_f32 v27, 0xbf3f9e67, v26, -v27
	v_dual_mul_f32 v41, 0x3e750f2a, v28 :: v_dual_add_f32 v38, v38, v43
	v_add_f32_e32 v20, v30, v20
	v_dual_add_f32 v30, v35, v37 :: v_dual_fmamk_f32 v35, v26, 0x3df6dbef, v42
	s_delay_alu instid0(VALU_DEP_4) | instskip(SKIP_4) | instid1(VALU_DEP_4)
	v_add_f32_e32 v27, v27, v31
	v_fma_f32 v31, 0x3df6dbef, v26, -v42
	v_fmamk_f32 v42, v26, 0xbf788fa5, v41
	v_fma_f32 v41, 0xbf788fa5, v26, -v41
	v_add_f32_e32 v47, v48, v49
	v_add_f32_e32 v31, v31, v46
	s_delay_alu instid0(VALU_DEP_3) | instskip(SKIP_1) | instid1(VALU_DEP_1)
	v_dual_add_f32 v38, v41, v38 :: v_dual_fmamk_f32 v41, v26, 0xbeb58ec6, v25
	v_mul_f32_e32 v37, 0xbf52af12, v28
	v_dual_add_f32 v35, v35, v6 :: v_dual_fmamk_f32 v6, v26, 0x3f116cb1, v37
	s_delay_alu instid0(VALU_DEP_1) | instskip(NEXT) | instid1(VALU_DEP_1)
	v_dual_add_f32 v39, v6, v39 :: v_dual_mul_f32 v6, 0x3eedf032, v28
	v_fmamk_f32 v28, v26, 0x3f62ad3f, v6
	v_fma_f32 v6, 0x3f62ad3f, v26, -v6
	s_delay_alu instid0(VALU_DEP_1) | instskip(SKIP_4) | instid1(VALU_DEP_4)
	v_dual_add_f32 v28, v28, v29 :: v_dual_add_f32 v29, v6, v40
	v_fma_f32 v6, 0xbeb58ec6, v26, -v25
	v_fmamk_f32 v25, v23, 0xbf788fa5, v21
	v_fma_f32 v21, 0xbf788fa5, v23, -v21
	v_fma_f32 v37, 0x3f116cb1, v26, -v37
	v_add_f32_e32 v40, v6, v20
	v_mul_f32_e32 v20, 0xbf29c268, v24
	s_delay_alu instid0(VALU_DEP_4) | instskip(SKIP_2) | instid1(VALU_DEP_1)
	v_dual_add_f32 v6, v21, v27 :: v_dual_mul_f32 v27, 0x3f52af12, v24
	v_add_f32_e32 v26, v41, v36
	v_dual_mul_f32 v36, 0x3eedf032, v24 :: v_dual_add_f32 v25, v25, v30
	v_dual_add_f32 v37, v37, v44 :: v_dual_fmamk_f32 v30, v23, 0x3f62ad3f, v36
	v_fma_f32 v21, 0x3f62ad3f, v23, -v36
	v_fmamk_f32 v36, v23, 0xbf3f9e67, v20
	v_fma_f32 v20, 0xbf3f9e67, v23, -v20
	s_delay_alu instid0(VALU_DEP_4) | instskip(NEXT) | instid1(VALU_DEP_4)
	v_add_f32_e32 v30, v30, v35
	v_add_f32_e32 v21, v21, v31
	s_delay_alu instid0(VALU_DEP_4) | instskip(SKIP_2) | instid1(VALU_DEP_3)
	v_dual_add_f32 v35, v36, v39 :: v_dual_mul_f32 v36, 0xbf6f5d39, v24
	v_mul_f32_e32 v24, 0x3f7e222b, v24
	v_dual_add_f32 v42, v42, v47 :: v_dual_fmamk_f32 v31, v23, 0x3f116cb1, v27
	v_dual_add_f32 v20, v20, v37 :: v_dual_fmamk_f32 v37, v23, 0xbeb58ec6, v36
	v_fma_f32 v27, 0x3f116cb1, v23, -v27
	v_fma_f32 v36, 0xbeb58ec6, v23, -v36
	v_fmamk_f32 v39, v23, 0x3df6dbef, v24
	v_fma_f32 v23, 0x3df6dbef, v23, -v24
	v_add_f32_e32 v31, v31, v42
	v_dual_add_f32 v24, v27, v38 :: v_dual_add_f32 v27, v37, v28
	s_delay_alu instid0(VALU_DEP_4) | instskip(NEXT) | instid1(VALU_DEP_4)
	v_add_f32_e32 v26, v39, v26
	v_dual_add_f32 v23, v23, v40 :: v_dual_add_f32 v28, v36, v29
	ds_store_2addr_b32 v9, v45, v25 offset1:17
	ds_store_2addr_b32 v9, v30, v35 offset0:34 offset1:51
	ds_store_2addr_b32 v9, v31, v27 offset0:68 offset1:85
	;; [unrolled: 1-line block ×5, first 2 shown]
	ds_store_b32 v9, v6 offset:816
	v_add_nc_u32_e32 v9, 0x400, v1
	v_add_nc_u32_e32 v23, 0x800, v1
	;; [unrolled: 1-line block ×3, first 2 shown]
	global_wb scope:SCOPE_SE
	s_wait_dscnt 0x0
	s_barrier_signal -1
	s_barrier_wait -1
	global_inv scope:SCOPE_SE
	ds_load_2addr_b32 v[24:25], v1 offset0:85 offset1:221
	ds_load_2addr_b32 v[28:29], v9 offset0:50 offset1:186
	;; [unrolled: 1-line block ×4, first 2 shown]
	ds_load_b32 v35, v22
	ds_load_b32 v36, v1 offset:3876
	s_and_saveexec_b32 s1, s0
	s_cbranch_execz .LBB0_18
; %bb.17:
	v_add_nc_u32_e32 v6, 0x280, v1
	v_add_nc_u32_e32 v7, 0x980, v1
	ds_load_2addr_b32 v[20:21], v6 offset0:10 offset1:231
	ds_load_2addr_b32 v[6:7], v7 offset0:4 offset1:225
	ds_load_b32 v32, v1 offset:4216
.LBB0_18:
	s_wait_alu 0xfffe
	s_or_b32 exec_lo, exec_lo, s1
	s_and_saveexec_b32 s1, vcc_lo
	s_cbranch_execz .LBB0_21
; %bb.19:
	v_add_nc_u32_e32 v1, 0x55, v0
	s_delay_alu instid0(VALU_DEP_1) | instskip(NEXT) | instid1(VALU_DEP_1)
	v_dual_mov_b32 v23, 0 :: v_dual_lshlrev_b32 v22, 2, v1
	v_mov_b32_e32 v9, v23
	s_delay_alu instid0(VALU_DEP_2) | instskip(NEXT) | instid1(VALU_DEP_2)
	v_lshlrev_b64_e32 v[37:38], 3, v[22:23]
	v_lshlrev_b64_e32 v[8:9], 3, v[8:9]
	s_delay_alu instid0(VALU_DEP_2) | instskip(SKIP_1) | instid1(VALU_DEP_3)
	v_add_co_u32 v41, vcc_lo, s4, v37
	s_wait_alu 0xfffd
	v_add_co_ci_u32_e32 v42, vcc_lo, s5, v38, vcc_lo
	s_delay_alu instid0(VALU_DEP_3)
	v_add_co_u32 v8, vcc_lo, s4, v8
	s_wait_alu 0xfffd
	v_add_co_ci_u32_e32 v9, vcc_lo, s5, v9, vcc_lo
	s_clause 0x3
	global_load_b128 v[37:40], v[41:42], off offset:1648
	global_load_b128 v[41:44], v[41:42], off offset:1632
	;; [unrolled: 1-line block ×4, first 2 shown]
	v_mul_hi_u32 v8, 0x288b0129, v1
	s_delay_alu instid0(VALU_DEP_1) | instskip(NEXT) | instid1(VALU_DEP_1)
	v_sub_nc_u32_e32 v1, v1, v8
	v_lshrrev_b32_e32 v1, 1, v1
	s_delay_alu instid0(VALU_DEP_1) | instskip(NEXT) | instid1(VALU_DEP_1)
	v_dual_mov_b32 v1, v23 :: v_dual_add_nc_u32 v8, v1, v8
	v_lshrrev_b32_e32 v22, 7, v8
	s_delay_alu instid0(VALU_DEP_1) | instskip(NEXT) | instid1(VALU_DEP_1)
	v_mul_u32_u24_e32 v22, 0x374, v22
	v_lshlrev_b64_e32 v[55:56], 3, v[22:23]
	s_wait_loadcnt 0x3
	v_mul_f32_e32 v53, v14, v38
	s_wait_loadcnt 0x2
	v_mul_f32_e32 v22, v16, v42
	s_wait_dscnt 0x4
	v_mul_f32_e32 v42, v28, v42
	v_lshlrev_b64_e32 v[8:9], 3, v[0:1]
	v_add_co_u32 v1, vcc_lo, s8, v2
	s_wait_alu 0xfffd
	v_add_co_ci_u32_e32 v2, vcc_lo, s9, v3, vcc_lo
	v_mul_f32_e32 v3, v18, v44
	s_delay_alu instid0(VALU_DEP_3) | instskip(SKIP_1) | instid1(VALU_DEP_3)
	v_add_co_u32 v1, vcc_lo, v1, v8
	s_wait_alu 0xfffd
	v_add_co_ci_u32_e32 v2, vcc_lo, v2, v9, vcc_lo
	s_wait_loadcnt_dscnt 0x3
	v_dual_mul_f32 v44, v26, v44 :: v_dual_mul_f32 v59, v19, v50
	v_add_co_u32 v8, vcc_lo, v1, v55
	v_dual_mul_f32 v55, v34, v40 :: v_dual_mul_f32 v50, v27, v50
	s_wait_dscnt 0x0
	v_mul_f32_e32 v40, v36, v40
	v_dual_mul_f32 v38, v30, v38 :: v_dual_mul_f32 v57, v17, v48
	s_wait_alu 0xfffd
	v_add_co_ci_u32_e32 v9, vcc_lo, v2, v56, vcc_lo
	v_mul_f32_e32 v56, v13, v46
	v_dual_mul_f32 v58, v15, v52 :: v_dual_fmac_f32 v3, v26, v43
	v_dual_mul_f32 v48, v29, v48 :: v_dual_fmac_f32 v53, v30, v37
	v_dual_mul_f32 v46, v25, v46 :: v_dual_fmac_f32 v55, v36, v39
	v_dual_mul_f32 v52, v31, v52 :: v_dual_fmac_f32 v57, v29, v47
	v_fmac_f32_e32 v22, v28, v41
	v_fma_f32 v16, v16, v41, -v42
	v_fma_f32 v39, v34, v39, -v40
	;; [unrolled: 1-line block ×4, first 2 shown]
	v_fmac_f32_e32 v58, v31, v51
	s_delay_alu instid0(VALU_DEP_4)
	v_dual_fmac_f32 v59, v27, v49 :: v_dual_sub_f32 v36, v16, v39
	v_fma_f32 v26, v17, v47, -v48
	v_fma_f32 v19, v19, v49, -v50
	;; [unrolled: 1-line block ×4, first 2 shown]
	v_sub_f32_e32 v15, v53, v55
	v_dual_fmac_f32 v56, v25, v45 :: v_dual_add_f32 v17, v22, v55
	v_dual_sub_f32 v14, v3, v22 :: v_dual_sub_f32 v27, v30, v39
	v_dual_sub_f32 v25, v18, v16 :: v_dual_add_f32 v28, v16, v39
	v_sub_f32_e32 v43, v39, v30
	v_dual_sub_f32 v40, v3, v53 :: v_dual_sub_f32 v41, v22, v55
	v_dual_sub_f32 v29, v22, v3 :: v_dual_add_f32 v34, v3, v53
	v_dual_sub_f32 v42, v16, v18 :: v_dual_sub_f32 v47, v58, v59
	v_dual_add_f32 v44, v18, v30 :: v_dual_add_f32 v45, v12, v16
	v_dual_add_f32 v22, v24, v22 :: v_dual_sub_f32 v49, v13, v37
	v_dual_sub_f32 v46, v56, v57 :: v_dual_sub_f32 v51, v13, v26
	v_dual_add_f32 v50, v57, v59 :: v_dual_add_f32 v65, v56, v58
	v_dual_sub_f32 v52, v37, v19 :: v_dual_sub_f32 v67, v19, v37
	v_dual_add_f32 v60, v26, v19 :: v_dual_sub_f32 v63, v57, v56
	v_dual_sub_f32 v64, v59, v58 :: v_dual_add_f32 v69, v33, v13
	v_add_f32_e32 v68, v13, v37
	v_dual_sub_f32 v48, v26, v19 :: v_dual_sub_f32 v61, v56, v58
	v_dual_sub_f32 v66, v26, v13 :: v_dual_add_f32 v71, v25, v27
	v_add_f32_e32 v56, v35, v56
	v_dual_sub_f32 v38, v18, v30 :: v_dual_sub_f32 v31, v55, v53
	v_dual_sub_f32 v62, v57, v59 :: v_dual_add_f32 v3, v3, v22
	v_add_f32_e32 v70, v14, v15
	v_fma_f32 v14, -0.5, v17, v24
	v_fma_f32 v13, -0.5, v28, v12
	;; [unrolled: 1-line block ×3, first 2 shown]
	v_add_f32_e32 v42, v42, v43
	v_fma_f32 v15, -0.5, v44, v12
	v_add_f32_e32 v12, v18, v45
	v_add_f32_e32 v22, v46, v47
	v_fma_f32 v18, -0.5, v50, v35
	v_add_f32_e32 v43, v51, v52
	v_fma_f32 v17, -0.5, v60, v33
	v_fma_f32 v25, -0.5, v65, v35
	;; [unrolled: 1-line block ×3, first 2 shown]
	v_dual_add_f32 v46, v69, v26 :: v_dual_add_f32 v45, v66, v67
	v_dual_add_f32 v35, v56, v57 :: v_dual_add_f32 v72, v29, v31
	v_fmamk_f32 v27, v38, 0xbf737871, v14
	v_dual_fmamk_f32 v26, v40, 0x3f737871, v13 :: v_dual_fmamk_f32 v31, v49, 0x3f737871, v18
	v_fmac_f32_e32 v14, 0x3f737871, v38
	v_fmamk_f32 v29, v36, 0xbf737871, v16
	v_add_f32_e32 v12, v12, v30
	v_fmamk_f32 v30, v61, 0xbf737871, v17
	v_fmamk_f32 v33, v62, 0x3f737871, v24
	v_dual_fmac_f32 v16, 0x3f737871, v36 :: v_dual_add_f32 v19, v46, v19
	v_fmamk_f32 v34, v48, 0xbf737871, v25
	v_fmac_f32_e32 v25, 0x3f737871, v48
	v_fmac_f32_e32 v18, 0xbf737871, v49
	;; [unrolled: 1-line block ×3, first 2 shown]
	v_add_f32_e32 v37, v37, v19
	v_fmac_f32_e32 v13, 0xbf737871, v40
	v_dual_fmamk_f32 v28, v41, 0x3f737871, v15 :: v_dual_add_f32 v47, v35, v59
	v_dual_fmac_f32 v24, 0xbf737871, v62 :: v_dual_fmac_f32 v15, 0xbf737871, v41
	v_dual_add_f32 v44, v63, v64 :: v_dual_add_f32 v3, v53, v3
	v_dual_fmac_f32 v34, 0x3f167918, v49 :: v_dual_fmac_f32 v17, 0x3f167918, v62
	v_dual_fmac_f32 v25, 0xbf167918, v49 :: v_dual_fmac_f32 v18, 0xbf167918, v48
	;; [unrolled: 1-line block ×3, first 2 shown]
	v_fmac_f32_e32 v24, 0x3f167918, v61
	v_dual_fmac_f32 v14, 0xbf167918, v36 :: v_dual_fmac_f32 v33, 0xbf167918, v61
	v_dual_fmac_f32 v16, 0x3f167918, v38 :: v_dual_fmac_f32 v31, 0x3f167918, v48
	v_add_f32_e32 v35, v12, v39
	v_dual_fmac_f32 v15, 0xbf167918, v40 :: v_dual_fmac_f32 v30, 0xbf167918, v62
	v_dual_fmac_f32 v27, 0x3f167918, v36 :: v_dual_add_f32 v36, v3, v55
	v_dual_fmac_f32 v26, 0xbf167918, v41 :: v_dual_fmac_f32 v29, 0xbf167918, v38
	s_delay_alu instid0(VALU_DEP_2)
	v_dual_add_f32 v38, v58, v47 :: v_dual_fmac_f32 v27, 0x3e9e377a, v70
	v_dual_fmac_f32 v18, 0x3e9e377a, v22 :: v_dual_fmac_f32 v17, 0x3e9e377a, v43
	v_dual_fmac_f32 v28, 0x3e9e377a, v42 :: v_dual_fmac_f32 v25, 0x3e9e377a, v44
	;; [unrolled: 1-line block ×4, first 2 shown]
	v_fmac_f32_e32 v30, 0x3e9e377a, v43
	v_dual_fmac_f32 v26, 0x3e9e377a, v71 :: v_dual_fmac_f32 v29, 0x3e9e377a, v72
	v_dual_fmac_f32 v14, 0x3e9e377a, v70 :: v_dual_fmac_f32 v13, 0x3e9e377a, v71
	;; [unrolled: 1-line block ×3, first 2 shown]
	s_clause 0x9
	global_store_b64 v[1:2], v[37:38], off
	global_store_b64 v[1:2], v[17:18], off offset:1768
	global_store_b64 v[1:2], v[24:25], off offset:3536
	;; [unrolled: 1-line block ×9, first 2 shown]
	s_and_b32 exec_lo, exec_lo, s0
	s_cbranch_execz .LBB0_21
; %bb.20:
	v_mov_b32_e32 v3, 0xaa
	s_delay_alu instid0(VALU_DEP_1) | instskip(NEXT) | instid1(VALU_DEP_1)
	v_cndmask_b32_e64 v3, 0xffffffcd, v3, s0
	v_add_lshl_u32 v22, v0, v3, 2
	s_delay_alu instid0(VALU_DEP_1) | instskip(NEXT) | instid1(VALU_DEP_1)
	v_lshlrev_b64_e32 v[8:9], 3, v[22:23]
	v_add_co_u32 v8, vcc_lo, s4, v8
	s_wait_alu 0xfffd
	s_delay_alu instid0(VALU_DEP_2)
	v_add_co_ci_u32_e32 v9, vcc_lo, s5, v9, vcc_lo
	s_clause 0x1
	global_load_b128 v[12:15], v[8:9], off offset:1632
	global_load_b128 v[16:19], v[8:9], off offset:1648
	s_wait_loadcnt 0x1
	v_mul_f32_e32 v0, v21, v13
	v_dual_mul_f32 v3, v11, v13 :: v_dual_mul_f32 v8, v6, v15
	s_delay_alu instid0(VALU_DEP_2) | instskip(SKIP_1) | instid1(VALU_DEP_3)
	v_fma_f32 v0, v11, v12, -v0
	v_mul_f32_e32 v9, v4, v15
	v_fma_f32 v4, v4, v14, -v8
	s_wait_loadcnt 0x0
	v_mul_f32_e32 v15, v5, v17
	s_delay_alu instid0(VALU_DEP_2) | instskip(NEXT) | instid1(VALU_DEP_2)
	v_dual_fmac_f32 v9, v6, v14 :: v_dual_sub_f32 v8, v0, v4
	v_fmac_f32_e32 v15, v7, v16
	v_dual_mul_f32 v13, v7, v17 :: v_dual_add_f32 v6, v10, v0
	s_delay_alu instid0(VALU_DEP_2) | instskip(NEXT) | instid1(VALU_DEP_2)
	v_sub_f32_e32 v14, v9, v15
	v_fma_f32 v5, v5, v16, -v13
	s_delay_alu instid0(VALU_DEP_3) | instskip(NEXT) | instid1(VALU_DEP_1)
	v_dual_mul_f32 v17, v32, v19 :: v_dual_add_f32 v6, v6, v4
	v_fma_f32 v11, v54, v18, -v17
	v_fmac_f32_e32 v3, v21, v12
	v_sub_f32_e32 v17, v4, v0
	s_delay_alu instid0(VALU_DEP_3) | instskip(NEXT) | instid1(VALU_DEP_3)
	v_add_f32_e32 v16, v0, v11
	v_dual_mul_f32 v19, v54, v19 :: v_dual_sub_f32 v24, v3, v9
	v_sub_f32_e32 v0, v0, v11
	v_dual_sub_f32 v12, v11, v5 :: v_dual_add_f32 v21, v20, v3
	s_delay_alu instid0(VALU_DEP_3) | instskip(SKIP_1) | instid1(VALU_DEP_3)
	v_dual_fmac_f32 v19, v32, v18 :: v_dual_sub_f32 v18, v5, v11
	v_dual_add_f32 v22, v9, v15 :: v_dual_add_f32 v7, v4, v5
	v_dual_add_f32 v29, v8, v12 :: v_dual_add_f32 v12, v6, v5
	s_delay_alu instid0(VALU_DEP_3)
	v_add_f32_e32 v26, v3, v19
	v_sub_f32_e32 v13, v3, v19
	v_sub_f32_e32 v27, v9, v3
	v_dual_sub_f32 v28, v15, v19 :: v_dual_sub_f32 v23, v4, v5
	v_fma_f32 v3, -0.5, v7, v10
	v_fmac_f32_e32 v10, -0.5, v16
	v_dual_add_f32 v16, v17, v18 :: v_dual_sub_f32 v25, v19, v15
	v_add_f32_e32 v8, v21, v9
	v_fma_f32 v4, -0.5, v22, v20
	v_dual_fmac_f32 v20, -0.5, v26 :: v_dual_fmamk_f32 v5, v13, 0x3f737871, v3
	v_fmac_f32_e32 v3, 0xbf737871, v13
	v_dual_fmamk_f32 v7, v14, 0xbf737871, v10 :: v_dual_add_f32 v12, v12, v11
	s_delay_alu instid0(VALU_DEP_3) | instskip(SKIP_3) | instid1(VALU_DEP_3)
	v_dual_add_f32 v15, v8, v15 :: v_dual_fmamk_f32 v8, v23, 0x3f737871, v20
	v_dual_fmac_f32 v20, 0xbf737871, v23 :: v_dual_add_f32 v17, v27, v28
	v_fmamk_f32 v6, v0, 0xbf737871, v4
	v_fmac_f32_e32 v4, 0x3f737871, v0
	v_dual_fmac_f32 v5, 0x3f167918, v14 :: v_dual_fmac_f32 v20, 0x3f167918, v0
	v_fmac_f32_e32 v7, 0x3f167918, v13
	v_dual_add_f32 v9, v24, v25 :: v_dual_fmac_f32 v10, 0x3f737871, v14
	s_delay_alu instid0(VALU_DEP_4) | instskip(NEXT) | instid1(VALU_DEP_3)
	v_fmac_f32_e32 v4, 0x3f167918, v23
	v_dual_fmac_f32 v20, 0x3e9e377a, v17 :: v_dual_fmac_f32 v7, 0x3e9e377a, v16
	v_dual_fmac_f32 v6, 0xbf167918, v23 :: v_dual_fmac_f32 v3, 0xbf167918, v14
	s_delay_alu instid0(VALU_DEP_4) | instskip(SKIP_2) | instid1(VALU_DEP_3)
	v_dual_fmac_f32 v10, 0xbf167918, v13 :: v_dual_add_f32 v13, v15, v19
	v_fmac_f32_e32 v8, 0xbf167918, v0
	v_fmac_f32_e32 v5, 0x3e9e377a, v29
	v_dual_mov_b32 v11, v20 :: v_dual_fmac_f32 v10, 0x3e9e377a, v16
	v_fmac_f32_e32 v6, 0x3e9e377a, v9
	s_delay_alu instid0(VALU_DEP_4)
	v_fmac_f32_e32 v8, 0x3e9e377a, v17
	v_fmac_f32_e32 v3, 0x3e9e377a, v29
	;; [unrolled: 1-line block ×3, first 2 shown]
	s_clause 0x4
	global_store_b64 v[1:2], v[12:13], off offset:1360
	global_store_b64 v[1:2], v[5:6], off offset:3128
	;; [unrolled: 1-line block ×5, first 2 shown]
.LBB0_21:
	s_nop 0
	s_sendmsg sendmsg(MSG_DEALLOC_VGPRS)
	s_endpgm
	.section	.rodata,"a",@progbits
	.p2align	6, 0x0
	.amdhsa_kernel fft_rtc_fwd_len1105_factors_17_13_5_wgs_255_tpt_85_halfLds_sp_ip_CI_unitstride_sbrr_dirReg
		.amdhsa_group_segment_fixed_size 0
		.amdhsa_private_segment_fixed_size 0
		.amdhsa_kernarg_size 88
		.amdhsa_user_sgpr_count 2
		.amdhsa_user_sgpr_dispatch_ptr 0
		.amdhsa_user_sgpr_queue_ptr 0
		.amdhsa_user_sgpr_kernarg_segment_ptr 1
		.amdhsa_user_sgpr_dispatch_id 0
		.amdhsa_user_sgpr_private_segment_size 0
		.amdhsa_wavefront_size32 1
		.amdhsa_uses_dynamic_stack 0
		.amdhsa_enable_private_segment 0
		.amdhsa_system_sgpr_workgroup_id_x 1
		.amdhsa_system_sgpr_workgroup_id_y 0
		.amdhsa_system_sgpr_workgroup_id_z 0
		.amdhsa_system_sgpr_workgroup_info 0
		.amdhsa_system_vgpr_workitem_id 0
		.amdhsa_next_free_vgpr 114
		.amdhsa_next_free_sgpr 32
		.amdhsa_reserve_vcc 1
		.amdhsa_float_round_mode_32 0
		.amdhsa_float_round_mode_16_64 0
		.amdhsa_float_denorm_mode_32 3
		.amdhsa_float_denorm_mode_16_64 3
		.amdhsa_fp16_overflow 0
		.amdhsa_workgroup_processor_mode 1
		.amdhsa_memory_ordered 1
		.amdhsa_forward_progress 0
		.amdhsa_round_robin_scheduling 0
		.amdhsa_exception_fp_ieee_invalid_op 0
		.amdhsa_exception_fp_denorm_src 0
		.amdhsa_exception_fp_ieee_div_zero 0
		.amdhsa_exception_fp_ieee_overflow 0
		.amdhsa_exception_fp_ieee_underflow 0
		.amdhsa_exception_fp_ieee_inexact 0
		.amdhsa_exception_int_div_zero 0
	.end_amdhsa_kernel
	.text
.Lfunc_end0:
	.size	fft_rtc_fwd_len1105_factors_17_13_5_wgs_255_tpt_85_halfLds_sp_ip_CI_unitstride_sbrr_dirReg, .Lfunc_end0-fft_rtc_fwd_len1105_factors_17_13_5_wgs_255_tpt_85_halfLds_sp_ip_CI_unitstride_sbrr_dirReg
                                        ; -- End function
	.section	.AMDGPU.csdata,"",@progbits
; Kernel info:
; codeLenInByte = 13120
; NumSgprs: 34
; NumVgprs: 114
; ScratchSize: 0
; MemoryBound: 0
; FloatMode: 240
; IeeeMode: 1
; LDSByteSize: 0 bytes/workgroup (compile time only)
; SGPRBlocks: 4
; VGPRBlocks: 14
; NumSGPRsForWavesPerEU: 34
; NumVGPRsForWavesPerEU: 114
; Occupancy: 12
; WaveLimiterHint : 1
; COMPUTE_PGM_RSRC2:SCRATCH_EN: 0
; COMPUTE_PGM_RSRC2:USER_SGPR: 2
; COMPUTE_PGM_RSRC2:TRAP_HANDLER: 0
; COMPUTE_PGM_RSRC2:TGID_X_EN: 1
; COMPUTE_PGM_RSRC2:TGID_Y_EN: 0
; COMPUTE_PGM_RSRC2:TGID_Z_EN: 0
; COMPUTE_PGM_RSRC2:TIDIG_COMP_CNT: 0
	.text
	.p2alignl 7, 3214868480
	.fill 96, 4, 3214868480
	.type	__hip_cuid_502b2581b2685452,@object ; @__hip_cuid_502b2581b2685452
	.section	.bss,"aw",@nobits
	.globl	__hip_cuid_502b2581b2685452
__hip_cuid_502b2581b2685452:
	.byte	0                               ; 0x0
	.size	__hip_cuid_502b2581b2685452, 1

	.ident	"AMD clang version 19.0.0git (https://github.com/RadeonOpenCompute/llvm-project roc-6.4.0 25133 c7fe45cf4b819c5991fe208aaa96edf142730f1d)"
	.section	".note.GNU-stack","",@progbits
	.addrsig
	.addrsig_sym __hip_cuid_502b2581b2685452
	.amdgpu_metadata
---
amdhsa.kernels:
  - .args:
      - .actual_access:  read_only
        .address_space:  global
        .offset:         0
        .size:           8
        .value_kind:     global_buffer
      - .offset:         8
        .size:           8
        .value_kind:     by_value
      - .actual_access:  read_only
        .address_space:  global
        .offset:         16
        .size:           8
        .value_kind:     global_buffer
      - .actual_access:  read_only
        .address_space:  global
        .offset:         24
        .size:           8
        .value_kind:     global_buffer
      - .offset:         32
        .size:           8
        .value_kind:     by_value
      - .actual_access:  read_only
        .address_space:  global
        .offset:         40
        .size:           8
        .value_kind:     global_buffer
      - .actual_access:  read_only
        .address_space:  global
        .offset:         48
        .size:           8
        .value_kind:     global_buffer
      - .offset:         56
        .size:           4
        .value_kind:     by_value
      - .actual_access:  read_only
        .address_space:  global
        .offset:         64
        .size:           8
        .value_kind:     global_buffer
      - .actual_access:  read_only
        .address_space:  global
        .offset:         72
        .size:           8
        .value_kind:     global_buffer
      - .address_space:  global
        .offset:         80
        .size:           8
        .value_kind:     global_buffer
    .group_segment_fixed_size: 0
    .kernarg_segment_align: 8
    .kernarg_segment_size: 88
    .language:       OpenCL C
    .language_version:
      - 2
      - 0
    .max_flat_workgroup_size: 255
    .name:           fft_rtc_fwd_len1105_factors_17_13_5_wgs_255_tpt_85_halfLds_sp_ip_CI_unitstride_sbrr_dirReg
    .private_segment_fixed_size: 0
    .sgpr_count:     34
    .sgpr_spill_count: 0
    .symbol:         fft_rtc_fwd_len1105_factors_17_13_5_wgs_255_tpt_85_halfLds_sp_ip_CI_unitstride_sbrr_dirReg.kd
    .uniform_work_group_size: 1
    .uses_dynamic_stack: false
    .vgpr_count:     114
    .vgpr_spill_count: 0
    .wavefront_size: 32
    .workgroup_processor_mode: 1
amdhsa.target:   amdgcn-amd-amdhsa--gfx1201
amdhsa.version:
  - 1
  - 2
...

	.end_amdgpu_metadata
